;; amdgpu-corpus repo=ROCm/rocFFT kind=compiled arch=gfx906 opt=O3
	.text
	.amdgcn_target "amdgcn-amd-amdhsa--gfx906"
	.amdhsa_code_object_version 6
	.protected	bluestein_single_fwd_len1210_dim1_sp_op_CI_CI ; -- Begin function bluestein_single_fwd_len1210_dim1_sp_op_CI_CI
	.globl	bluestein_single_fwd_len1210_dim1_sp_op_CI_CI
	.p2align	8
	.type	bluestein_single_fwd_len1210_dim1_sp_op_CI_CI,@function
bluestein_single_fwd_len1210_dim1_sp_op_CI_CI: ; @bluestein_single_fwd_len1210_dim1_sp_op_CI_CI
; %bb.0:
	s_load_dwordx4 s[12:15], s[4:5], 0x28
	v_mul_u32_u24_e32 v1, 0x254, v0
	v_add_u32_sdwa v86, s6, v1 dst_sel:DWORD dst_unused:UNUSED_PAD src0_sel:DWORD src1_sel:WORD_1
	v_mov_b32_e32 v87, 0
	s_waitcnt lgkmcnt(0)
	v_cmp_gt_u64_e32 vcc, s[12:13], v[86:87]
	s_and_saveexec_b64 s[0:1], vcc
	s_cbranch_execz .LBB0_23
; %bb.1:
	s_load_dwordx4 s[0:3], s[4:5], 0x18
	s_load_dwordx2 s[16:17], s[4:5], 0x0
	s_waitcnt lgkmcnt(0)
	s_load_dwordx4 s[8:11], s[0:1], 0x0
	s_movk_i32 s0, 0x6e
	v_mul_lo_u16_sdwa v1, v1, s0 dst_sel:DWORD dst_unused:UNUSED_PAD src0_sel:WORD_1 src1_sel:DWORD
	v_sub_u16_e32 v102, v0, v1
	v_lshlrev_b32_e32 v99, 3, v102
	s_waitcnt lgkmcnt(0)
	v_mad_u64_u32 v[0:1], s[0:1], s10, v86, 0
	v_mad_u64_u32 v[2:3], s[0:1], s8, v102, 0
	v_add_co_u32_e64 v100, s[6:7], s16, v99
	v_mad_u64_u32 v[4:5], s[0:1], s11, v86, v[1:2]
	v_mad_u64_u32 v[5:6], s[0:1], s9, v102, v[3:4]
	v_mov_b32_e32 v1, v4
	v_lshlrev_b64 v[0:1], 3, v[0:1]
	v_mov_b32_e32 v6, s15
	v_mov_b32_e32 v3, v5
	v_add_co_u32_e32 v4, vcc, s14, v0
	v_addc_co_u32_e32 v5, vcc, v6, v1, vcc
	v_lshlrev_b64 v[0:1], 3, v[2:3]
	s_mul_i32 s0, s9, 0x25d
	s_mul_hi_u32 s1, s8, 0x25d
	v_add_co_u32_e32 v0, vcc, v4, v0
	v_mov_b32_e32 v2, s17
	s_add_i32 s1, s1, s0
	s_mul_i32 s0, s8, 0x25d
	v_addc_co_u32_e32 v1, vcc, v5, v1, vcc
	v_addc_co_u32_e64 v101, vcc, 0, v2, s[6:7]
	s_lshl_b64 s[14:15], s[0:1], 3
	v_mov_b32_e32 v20, s15
	v_add_co_u32_e32 v2, vcc, s14, v0
	v_addc_co_u32_e32 v3, vcc, v1, v20, vcc
	s_movk_i32 s0, 0x1000
	s_mul_hi_u32 s1, s8, 0xfffffe11
	global_load_dwordx2 v[4:5], v[0:1], off
	global_load_dwordx2 v[6:7], v[2:3], off
	v_add_co_u32_e32 v0, vcc, s0, v100
	s_mul_i32 s0, s9, 0xfffffe11
	s_sub_i32 s1, s1, s8
	s_add_i32 s1, s1, s0
	s_mul_i32 s0, s8, 0xfffffe11
	v_addc_co_u32_e32 v1, vcc, 0, v101, vcc
	s_lshl_b64 s[18:19], s[0:1], 3
	v_mov_b32_e32 v21, s19
	v_add_co_u32_e32 v2, vcc, s18, v2
	v_addc_co_u32_e32 v3, vcc, v3, v21, vcc
	v_add_co_u32_e32 v8, vcc, s14, v2
	v_addc_co_u32_e32 v9, vcc, v3, v20, vcc
	;; [unrolled: 2-line block ×3, first 2 shown]
	global_load_dwordx2 v[93:94], v[0:1], off offset:744
	global_load_dwordx2 v[95:96], v99, s[16:17]
	global_load_dwordx2 v[89:90], v99, s[16:17] offset:880
	global_load_dwordx2 v[12:13], v[2:3], off
	global_load_dwordx2 v[14:15], v[8:9], off
	global_load_dwordx2 v[16:17], v[10:11], off
	v_add_co_u32_e32 v2, vcc, s14, v10
	v_addc_co_u32_e32 v3, vcc, v11, v20, vcc
	global_load_dwordx2 v[8:9], v[2:3], off
	global_load_dwordx2 v[91:92], v[0:1], off offset:1624
	global_load_dwordx2 v[84:85], v[0:1], off offset:2504
	v_add_co_u32_e32 v2, vcc, s18, v2
	v_addc_co_u32_e32 v3, vcc, v3, v21, vcc
	global_load_dwordx2 v[10:11], v[2:3], off
	global_load_dwordx2 v[87:88], v99, s[16:17] offset:1760
	global_load_dwordx2 v[82:83], v99, s[16:17] offset:2640
	v_add_co_u32_e32 v2, vcc, s14, v2
	v_addc_co_u32_e32 v3, vcc, v3, v20, vcc
	global_load_dwordx2 v[18:19], v[2:3], off
	global_load_dwordx2 v[80:81], v[0:1], off offset:3384
	v_add_co_u32_e32 v0, vcc, s18, v2
	v_addc_co_u32_e32 v1, vcc, v3, v21, vcc
	global_load_dwordx2 v[2:3], v[0:1], off
	global_load_dwordx2 v[76:77], v99, s[16:17] offset:3520
	v_add_co_u32_e32 v0, vcc, s14, v0
	v_addc_co_u32_e32 v1, vcc, v1, v20, vcc
	s_movk_i32 s0, 0x2000
	v_add_co_u32_e32 v22, vcc, s0, v100
	v_addc_co_u32_e32 v23, vcc, 0, v101, vcc
	global_load_dwordx2 v[20:21], v[0:1], off
	global_load_dwordx2 v[78:79], v[22:23], off offset:168
	s_load_dwordx2 s[12:13], s[4:5], 0x38
	s_load_dwordx4 s[8:11], s[2:3], 0x0
	v_cmp_gt_u16_e64 s[0:1], 55, v102
	s_waitcnt vmcnt(16)
	v_mul_f32_e32 v22, v5, v96
	v_fmac_f32_e32 v22, v4, v95
	v_mul_f32_e32 v4, v4, v96
	v_fma_f32 v23, v5, v95, -v4
	v_mul_f32_e32 v4, v7, v94
	v_mul_f32_e32 v5, v6, v94
	v_fmac_f32_e32 v4, v6, v93
	v_fma_f32 v5, v7, v93, -v5
	ds_write_b64 v99, v[4:5] offset:4840
	s_waitcnt vmcnt(14)
	v_mul_f32_e32 v4, v13, v90
	v_mul_f32_e32 v5, v12, v90
	v_fmac_f32_e32 v4, v12, v89
	v_fma_f32 v5, v13, v89, -v5
	s_waitcnt vmcnt(9)
	v_mul_f32_e32 v12, v9, v85
	ds_write2_b64 v99, v[22:23], v[4:5] offset1:110
	v_mul_f32_e32 v4, v15, v92
	v_mul_f32_e32 v5, v14, v92
	v_fmac_f32_e32 v12, v8, v84
	v_mul_f32_e32 v8, v8, v85
	v_fmac_f32_e32 v4, v14, v91
	v_fma_f32 v5, v15, v91, -v5
	v_fma_f32 v13, v9, v84, -v8
	v_add_u32_e32 v8, 0x1400, v99
	s_waitcnt vmcnt(7)
	v_mul_f32_e32 v6, v17, v88
	v_mul_f32_e32 v7, v16, v88
	ds_write2_b64 v8, v[4:5], v[12:13] offset0:75 offset1:185
	s_waitcnt vmcnt(6)
	v_mul_f32_e32 v4, v11, v83
	v_mul_f32_e32 v5, v10, v83
	v_fmac_f32_e32 v6, v16, v87
	v_fma_f32 v7, v17, v87, -v7
	v_fmac_f32_e32 v4, v10, v82
	v_fma_f32 v5, v11, v82, -v5
	v_add_u32_e32 v9, 0x400, v99
	ds_write2_b64 v9, v[6:7], v[4:5] offset0:92 offset1:202
	s_waitcnt vmcnt(2)
	v_mul_f32_e32 v6, v3, v77
	v_fmac_f32_e32 v6, v2, v76
	v_mul_f32_e32 v2, v2, v77
	v_mul_f32_e32 v4, v19, v81
	;; [unrolled: 1-line block ×3, first 2 shown]
	v_fma_f32 v7, v3, v76, -v2
	s_waitcnt vmcnt(0)
	v_mul_f32_e32 v2, v21, v79
	v_mul_f32_e32 v3, v20, v79
	v_fmac_f32_e32 v4, v18, v80
	v_fma_f32 v5, v19, v80, -v5
	v_fmac_f32_e32 v2, v20, v78
	v_fma_f32 v3, v21, v78, -v3
	v_add_u32_e32 v12, 0x1c00, v99
	ds_write_b64 v99, v[6:7] offset:3520
	ds_write2_b64 v12, v[4:5], v[2:3] offset0:39 offset1:149
	s_and_saveexec_b64 s[2:3], s[0:1]
	s_cbranch_execz .LBB0_3
; %bb.2:
	v_mov_b32_e32 v2, s19
	v_add_co_u32_e32 v0, vcc, s18, v0
	v_addc_co_u32_e32 v1, vcc, v1, v2, vcc
	v_add_co_u32_e32 v4, vcc, 0x1000, v100
	v_addc_co_u32_e32 v5, vcc, 0, v101, vcc
	global_load_dwordx2 v[2:3], v[0:1], off
	v_mov_b32_e32 v6, s15
	v_add_co_u32_e32 v0, vcc, s14, v0
	v_addc_co_u32_e32 v1, vcc, v1, v6, vcc
	v_add_co_u32_e32 v6, vcc, 0x2000, v100
	global_load_dwordx2 v[4:5], v[4:5], off offset:304
	v_addc_co_u32_e32 v7, vcc, 0, v101, vcc
	global_load_dwordx2 v[6:7], v[6:7], off offset:1048
	s_waitcnt vmcnt(1)
	v_mul_f32_e32 v10, v3, v5
	global_load_dwordx2 v[0:1], v[0:1], off
	v_mul_f32_e32 v5, v2, v5
	v_fmac_f32_e32 v10, v2, v4
	v_fma_f32 v11, v3, v4, -v5
	ds_write_b64 v99, v[10:11] offset:4400
	s_waitcnt vmcnt(0)
	v_mul_f32_e32 v2, v1, v7
	v_mul_f32_e32 v3, v0, v7
	v_fmac_f32_e32 v2, v0, v6
	v_fma_f32 v3, v1, v6, -v3
	ds_write_b64 v99, v[2:3] offset:9240
.LBB0_3:
	s_or_b64 exec, exec, s[2:3]
	v_add_u32_e32 v0, 0xc00, v99
	s_waitcnt lgkmcnt(0)
	s_barrier
	ds_read2_b64 v[4:7], v99 offset1:110
	ds_read2_b64 v[0:3], v0 offset0:56 offset1:221
	ds_read2_b64 v[16:19], v8 offset0:75 offset1:185
	;; [unrolled: 1-line block ×4, first 2 shown]
                                        ; implicit-def: $vgpr22
                                        ; implicit-def: $vgpr20
	s_and_saveexec_b64 s[2:3], s[0:1]
	s_cbranch_execz .LBB0_5
; %bb.4:
	ds_read_b64 v[20:21], v99 offset:4400
	ds_read_b64 v[22:23], v99 offset:9240
.LBB0_5:
	s_or_b64 exec, exec, s[2:3]
	s_load_dwordx2 s[4:5], s[4:5], 0x8
	s_movk_i32 s2, 0xdc
	v_add_co_u32_e32 v38, vcc, s2, v102
	s_movk_i32 s2, 0x226
	s_waitcnt lgkmcnt(0)
	v_sub_f32_e32 v26, v4, v2
	v_sub_f32_e32 v27, v5, v3
	;; [unrolled: 1-line block ×5, first 2 shown]
	v_add_co_u32_e32 v39, vcc, 0x6e, v102
	v_add_co_u32_e32 v32, vcc, s2, v102
	v_fma_f32 v24, v4, 2.0, -v26
	v_fma_f32 v25, v5, 2.0, -v27
	v_sub_f32_e32 v4, v6, v16
	v_sub_f32_e32 v5, v7, v17
	;; [unrolled: 1-line block ×4, first 2 shown]
	v_fma_f32 v28, v10, 2.0, -v30
	v_fma_f32 v29, v11, 2.0, -v31
	;; [unrolled: 1-line block ×3, first 2 shown]
	v_sub_f32_e32 v10, v20, v22
	v_sub_f32_e32 v11, v21, v23
	v_lshlrev_b16_e32 v0, 1, v102
	v_lshlrev_b32_e32 v108, 4, v102
	v_fma_f32 v2, v6, 2.0, -v4
	v_fma_f32 v3, v7, 2.0, -v5
	;; [unrolled: 1-line block ×4, first 2 shown]
	v_sub_f32_e32 v15, v1, v15
	v_fma_f32 v8, v20, 2.0, -v10
	v_fma_f32 v9, v21, 2.0, -v11
	v_lshlrev_b32_e32 v105, 3, v0
	v_lshlrev_b32_e32 v106, 4, v39
	;; [unrolled: 1-line block ×4, first 2 shown]
	v_fma_f32 v13, v1, 2.0, -v15
	s_barrier
	ds_write_b128 v105, v[24:27]
	ds_write_b128 v106, v[2:5]
	ds_write_b128 v107, v[16:19]
	ds_write_b128 v108, v[28:31] offset:5280
	ds_write_b128 v108, v[12:15] offset:7040
	s_and_saveexec_b64 s[2:3], s[0:1]
	s_cbranch_execz .LBB0_7
; %bb.6:
	ds_write_b128 v104, v[8:11]
.LBB0_7:
	s_or_b64 exec, exec, s[2:3]
	v_add_u32_e32 v0, 0x400, v99
	s_waitcnt lgkmcnt(0)
	s_barrier
	ds_read2_b64 v[32:35], v0 offset0:114 offset1:224
	v_add_u32_e32 v0, 0xc00, v99
	ds_read2_b64 v[28:31], v0 offset0:100 offset1:210
	v_add_u32_e32 v0, 0x1400, v99
	;; [unrolled: 2-line block ×3, first 2 shown]
	ds_read2_b64 v[12:15], v99 offset1:110
	ds_read2_b64 v[20:23], v0 offset0:72 offset1:182
	v_cmp_gt_u16_e64 s[2:3], 22, v102
                                        ; implicit-def: $vgpr16
                                        ; implicit-def: $vgpr36
	s_and_saveexec_b64 s[14:15], s[2:3]
	s_cbranch_execz .LBB0_9
; %bb.8:
	v_add_u32_e32 v0, 0x680, v99
	ds_read2_b64 v[8:11], v0 offset0:12 offset1:254
	v_add_u32_e32 v0, 0x1600, v99
	ds_read2_b64 v[16:19], v0 offset1:242
	ds_read_b64 v[36:37], v99 offset:9504
.LBB0_9:
	s_or_b64 exec, exec, s[14:15]
	v_and_b32_e32 v103, 1, v102
	v_lshlrev_b32_e32 v40, 5, v103
	global_load_dwordx4 v[0:3], v40, s[4:5] offset:16
	global_load_dwordx4 v[4:7], v40, s[4:5]
	s_waitcnt vmcnt(0) lgkmcnt(0)
	s_barrier
	v_lshrrev_b32_e32 v109, 1, v38
	v_mul_f32_e32 v44, v24, v1
	v_mul_f32_e32 v40, v33, v5
	v_fma_f32 v40, v32, v4, -v40
	v_mul_f32_e32 v41, v32, v5
	v_mul_f32_e32 v32, v29, v7
	v_fmac_f32_e32 v41, v33, v4
	v_fma_f32 v33, v28, v6, -v32
	v_mul_f32_e32 v42, v28, v7
	v_mul_f32_e32 v28, v25, v1
	v_fma_f32 v43, v24, v0, -v28
	v_mul_f32_e32 v24, v21, v3
	v_fma_f32 v45, v20, v2, -v24
	v_mul_f32_e32 v46, v20, v3
	v_mul_f32_e32 v20, v35, v5
	v_fma_f32 v47, v34, v4, -v20
	v_mul_f32_e32 v20, v31, v7
	v_fma_f32 v49, v30, v6, -v20
	;; [unrolled: 2-line block ×5, first 2 shown]
	v_mul_f32_e32 v10, v10, v5
	v_fmac_f32_e32 v10, v11, v4
	v_mul_f32_e32 v11, v17, v7
	v_fmac_f32_e32 v46, v21, v2
	v_fma_f32 v11, v16, v6, -v11
	v_mul_f32_e32 v21, v16, v7
	v_mul_f32_e32 v16, v19, v1
	;; [unrolled: 1-line block ×3, first 2 shown]
	v_fma_f32 v22, v18, v0, -v16
	v_mul_f32_e32 v16, v37, v3
	v_fma_f32 v24, v36, v2, -v16
	v_add_f32_e32 v16, v12, v40
	v_add_f32_e32 v16, v16, v33
	;; [unrolled: 1-line block ×3, first 2 shown]
	v_mul_f32_e32 v52, v26, v1
	v_add_f32_e32 v26, v16, v45
	v_add_f32_e32 v16, v33, v43
	v_fma_f32 v28, -0.5, v16, v12
	v_fmac_f32_e32 v42, v29, v6
	v_fmac_f32_e32 v44, v25, v0
	v_mul_f32_e32 v50, v30, v7
	v_fmac_f32_e32 v54, v23, v2
	v_mul_f32_e32 v23, v18, v1
	v_sub_f32_e32 v16, v41, v46
	v_mov_b32_e32 v30, v28
	v_fmac_f32_e32 v21, v17, v6
	v_fmac_f32_e32 v23, v19, v0
	;; [unrolled: 1-line block ×3, first 2 shown]
	v_sub_f32_e32 v17, v42, v44
	v_sub_f32_e32 v18, v40, v33
	v_sub_f32_e32 v19, v45, v43
	v_fmac_f32_e32 v28, 0xbf737871, v16
	v_fmac_f32_e32 v30, 0x3f167918, v17
	v_add_f32_e32 v18, v18, v19
	v_fmac_f32_e32 v28, 0xbf167918, v17
	v_fmac_f32_e32 v30, 0x3e9e377a, v18
	;; [unrolled: 1-line block ×3, first 2 shown]
	v_add_f32_e32 v18, v40, v45
	v_fma_f32 v12, -0.5, v18, v12
	v_mov_b32_e32 v32, v12
	v_fmac_f32_e32 v32, 0xbf737871, v17
	v_fmac_f32_e32 v12, 0x3f737871, v17
	;; [unrolled: 1-line block ×4, first 2 shown]
	v_add_f32_e32 v16, v13, v41
	v_add_f32_e32 v16, v16, v42
	;; [unrolled: 1-line block ×3, first 2 shown]
	v_fmac_f32_e32 v52, v27, v0
	v_add_f32_e32 v27, v16, v46
	v_add_f32_e32 v16, v42, v44
	v_sub_f32_e32 v18, v33, v40
	v_sub_f32_e32 v19, v43, v45
	v_fma_f32 v29, -0.5, v16, v13
	v_fmac_f32_e32 v50, v31, v6
	v_add_f32_e32 v18, v18, v19
	v_sub_f32_e32 v16, v40, v45
	v_mov_b32_e32 v31, v29
	v_fmac_f32_e32 v32, 0x3e9e377a, v18
	v_fmac_f32_e32 v12, 0x3e9e377a, v18
	;; [unrolled: 1-line block ×3, first 2 shown]
	v_sub_f32_e32 v17, v33, v43
	v_sub_f32_e32 v18, v41, v42
	;; [unrolled: 1-line block ×3, first 2 shown]
	v_fmac_f32_e32 v29, 0x3f737871, v16
	v_fmac_f32_e32 v31, 0xbf167918, v17
	v_add_f32_e32 v18, v18, v19
	v_fmac_f32_e32 v29, 0x3f167918, v17
	v_fmac_f32_e32 v31, 0x3e9e377a, v18
	;; [unrolled: 1-line block ×3, first 2 shown]
	v_add_f32_e32 v18, v41, v46
	v_fma_f32 v13, -0.5, v18, v13
	v_mov_b32_e32 v33, v13
	v_fmac_f32_e32 v33, 0x3f737871, v17
	v_fmac_f32_e32 v13, 0xbf737871, v17
	;; [unrolled: 1-line block ×4, first 2 shown]
	v_add_f32_e32 v16, v14, v47
	v_add_f32_e32 v16, v16, v49
	;; [unrolled: 1-line block ×3, first 2 shown]
	v_mul_f32_e32 v48, v34, v5
	v_add_f32_e32 v34, v16, v53
	v_add_f32_e32 v16, v49, v51
	v_fmac_f32_e32 v48, v35, v4
	v_mul_f32_e32 v25, v36, v3
	v_sub_f32_e32 v18, v42, v41
	v_sub_f32_e32 v19, v44, v46
	v_fma_f32 v36, -0.5, v16, v14
	v_add_f32_e32 v18, v18, v19
	v_sub_f32_e32 v16, v48, v54
	v_mov_b32_e32 v40, v36
	v_fmac_f32_e32 v33, 0x3e9e377a, v18
	v_fmac_f32_e32 v13, 0x3e9e377a, v18
	;; [unrolled: 1-line block ×3, first 2 shown]
	v_sub_f32_e32 v17, v50, v52
	v_sub_f32_e32 v18, v47, v49
	;; [unrolled: 1-line block ×3, first 2 shown]
	v_fmac_f32_e32 v36, 0xbf737871, v16
	v_fmac_f32_e32 v40, 0x3f167918, v17
	v_add_f32_e32 v18, v18, v19
	v_fmac_f32_e32 v36, 0xbf167918, v17
	v_fmac_f32_e32 v40, 0x3e9e377a, v18
	;; [unrolled: 1-line block ×3, first 2 shown]
	v_add_f32_e32 v18, v47, v53
	v_fma_f32 v14, -0.5, v18, v14
	v_mov_b32_e32 v42, v14
	v_fmac_f32_e32 v42, 0xbf737871, v17
	v_fmac_f32_e32 v14, 0x3f737871, v17
	;; [unrolled: 1-line block ×4, first 2 shown]
	v_add_f32_e32 v16, v15, v48
	v_add_f32_e32 v16, v16, v50
	;; [unrolled: 1-line block ×5, first 2 shown]
	v_fmac_f32_e32 v25, v37, v2
	v_sub_f32_e32 v18, v49, v47
	v_sub_f32_e32 v19, v51, v53
	v_fma_f32 v37, -0.5, v16, v15
	v_add_f32_e32 v18, v18, v19
	v_sub_f32_e32 v16, v47, v53
	v_mov_b32_e32 v41, v37
	v_fmac_f32_e32 v42, 0x3e9e377a, v18
	v_fmac_f32_e32 v14, 0x3e9e377a, v18
	;; [unrolled: 1-line block ×3, first 2 shown]
	v_sub_f32_e32 v17, v49, v51
	v_sub_f32_e32 v18, v48, v50
	;; [unrolled: 1-line block ×3, first 2 shown]
	v_fmac_f32_e32 v37, 0x3f737871, v16
	v_fmac_f32_e32 v41, 0xbf167918, v17
	v_add_f32_e32 v18, v18, v19
	v_fmac_f32_e32 v37, 0x3f167918, v17
	v_fmac_f32_e32 v41, 0x3e9e377a, v18
	;; [unrolled: 1-line block ×3, first 2 shown]
	v_add_f32_e32 v18, v48, v54
	v_fmac_f32_e32 v15, -0.5, v18
	v_mov_b32_e32 v43, v15
	v_fmac_f32_e32 v43, 0x3f737871, v17
	v_fmac_f32_e32 v15, 0xbf737871, v17
	;; [unrolled: 1-line block ×4, first 2 shown]
	v_add_f32_e32 v16, v11, v22
	v_sub_f32_e32 v18, v50, v48
	v_sub_f32_e32 v19, v52, v54
	v_fma_f32 v97, -0.5, v16, v8
	v_add_f32_e32 v18, v18, v19
	v_sub_f32_e32 v17, v10, v25
	v_mov_b32_e32 v72, v97
	v_fmac_f32_e32 v43, 0x3e9e377a, v18
	v_fmac_f32_e32 v15, 0x3e9e377a, v18
	;; [unrolled: 1-line block ×3, first 2 shown]
	v_sub_f32_e32 v19, v21, v23
	v_sub_f32_e32 v16, v20, v11
	;; [unrolled: 1-line block ×3, first 2 shown]
	v_fmac_f32_e32 v97, 0xbf737871, v17
	v_fmac_f32_e32 v72, 0x3f167918, v19
	v_add_f32_e32 v16, v16, v18
	v_fmac_f32_e32 v97, 0xbf167918, v19
	v_fmac_f32_e32 v72, 0x3e9e377a, v16
	;; [unrolled: 1-line block ×3, first 2 shown]
	v_add_f32_e32 v16, v20, v24
	v_fma_f32 v18, -0.5, v16, v8
	v_mov_b32_e32 v16, v18
	v_fmac_f32_e32 v16, 0xbf737871, v19
	v_fmac_f32_e32 v18, 0x3f737871, v19
	;; [unrolled: 1-line block ×3, first 2 shown]
	v_sub_f32_e32 v44, v11, v20
	v_sub_f32_e32 v45, v22, v24
	v_fmac_f32_e32 v18, 0xbf167918, v17
	v_add_f32_e32 v17, v21, v23
	v_add_f32_e32 v44, v44, v45
	v_fma_f32 v98, -0.5, v17, v9
	v_fmac_f32_e32 v16, 0x3e9e377a, v44
	v_fmac_f32_e32 v18, 0x3e9e377a, v44
	v_sub_f32_e32 v44, v20, v24
	v_mov_b32_e32 v73, v98
	v_fmac_f32_e32 v73, 0xbf737871, v44
	v_sub_f32_e32 v45, v11, v22
	v_sub_f32_e32 v17, v10, v21
	;; [unrolled: 1-line block ×3, first 2 shown]
	v_fmac_f32_e32 v98, 0x3f737871, v44
	v_fmac_f32_e32 v73, 0xbf167918, v45
	v_add_f32_e32 v17, v17, v19
	v_fmac_f32_e32 v98, 0x3f167918, v45
	v_fmac_f32_e32 v73, 0x3e9e377a, v17
	;; [unrolled: 1-line block ×3, first 2 shown]
	v_add_f32_e32 v17, v10, v25
	v_fma_f32 v19, -0.5, v17, v9
	v_mov_b32_e32 v17, v19
	v_fmac_f32_e32 v17, 0x3f737871, v45
	v_fmac_f32_e32 v19, 0xbf737871, v45
	;; [unrolled: 1-line block ×4, first 2 shown]
	v_lshrrev_b32_e32 v44, 1, v102
	v_mul_u32_u24_e32 v44, 10, v44
	v_or_b32_e32 v44, v44, v103
	v_lshlrev_b32_e32 v111, 3, v44
	ds_write2_b64 v111, v[26:27], v[30:31] offset1:2
	ds_write2_b64 v111, v[32:33], v[12:13] offset0:4 offset1:6
	ds_write_b64 v111, v[28:29] offset:64
	v_lshrrev_b32_e32 v12, 1, v39
	v_sub_f32_e32 v46, v21, v10
	v_sub_f32_e32 v47, v23, v25
	v_mul_u32_u24_e32 v12, 10, v12
	v_add_f32_e32 v46, v46, v47
	v_or_b32_e32 v12, v12, v103
	v_fmac_f32_e32 v17, 0x3e9e377a, v46
	v_fmac_f32_e32 v19, 0x3e9e377a, v46
	v_lshlrev_b32_e32 v112, 3, v12
	ds_write2_b64 v112, v[34:35], v[40:41] offset1:2
	ds_write2_b64 v112, v[42:43], v[14:15] offset0:4 offset1:6
	ds_write_b64 v112, v[36:37] offset:64
	s_and_saveexec_b64 s[14:15], s[2:3]
	s_cbranch_execz .LBB0_11
; %bb.10:
	v_add_f32_e32 v9, v9, v10
	v_add_f32_e32 v8, v8, v20
	;; [unrolled: 1-line block ×4, first 2 shown]
	v_mul_u32_u24_e32 v10, 10, v109
	v_add_f32_e32 v9, v9, v23
	v_add_f32_e32 v8, v8, v22
	v_or_b32_e32 v10, v10, v103
	v_add_f32_e32 v9, v9, v25
	v_add_f32_e32 v8, v8, v24
	v_lshlrev_b32_e32 v10, 3, v10
	ds_write2_b64 v10, v[8:9], v[72:73] offset1:2
	ds_write2_b64 v10, v[16:17], v[18:19] offset0:4 offset1:6
	ds_write_b64 v10, v[97:98] offset:64
.LBB0_11:
	s_or_b64 exec, exec, s[14:15]
	s_movk_i32 s14, 0xcd
	v_mul_lo_u16_sdwa v8, v102, s14 dst_sel:DWORD dst_unused:UNUSED_PAD src0_sel:BYTE_0 src1_sel:DWORD
	v_lshrrev_b16_e32 v58, 11, v8
	v_mul_lo_u16_e32 v8, 10, v58
	v_sub_u16_e32 v8, v102, v8
	v_mov_b32_e32 v33, s5
	v_and_b32_e32 v59, 0xff, v8
	s_movk_i32 s18, 0x50
	v_mov_b32_e32 v32, s4
	v_mad_u64_u32 v[34:35], s[4:5], v59, s18, v[32:33]
	s_waitcnt lgkmcnt(0)
	s_barrier
	global_load_dwordx4 v[24:27], v[34:35], off offset:64
	global_load_dwordx4 v[20:23], v[34:35], off offset:80
	;; [unrolled: 1-line block ×5, first 2 shown]
	ds_read2_b64 v[34:37], v99 offset1:110
	v_add_u32_e32 v60, 0x400, v99
	ds_read_b64 v[56:57], v99 offset:8800
	v_add_u32_e32 v54, 0xc00, v99
	v_add_u32_e32 v61, 0x1400, v99
	;; [unrolled: 1-line block ×3, first 2 shown]
	ds_read2_b64 v[38:41], v60 offset0:92 offset1:202
	ds_read2_b64 v[42:45], v54 offset0:56 offset1:166
	;; [unrolled: 1-line block ×4, first 2 shown]
	s_mov_b32 s4, 0x3f575c64
	s_mov_b32 s5, 0x3ed4b147
	;; [unrolled: 1-line block ×5, first 2 shown]
	v_mul_u32_u24_e32 v58, 0x6e, v58
	s_waitcnt vmcnt(0) lgkmcnt(0)
	s_barrier
	v_mul_f32_e32 v62, v37, v25
	v_mul_f32_e32 v63, v36, v25
	;; [unrolled: 1-line block ×9, first 2 shown]
	v_fma_f32 v36, v36, v24, -v62
	v_fmac_f32_e32 v63, v37, v24
	v_mul_f32_e32 v67, v40, v21
	v_mul_f32_e32 v69, v42, v23
	;; [unrolled: 1-line block ×5, first 2 shown]
	v_fma_f32 v38, v38, v26, -v64
	v_fmac_f32_e32 v65, v39, v26
	v_fma_f32 v39, v40, v20, -v66
	v_fma_f32 v40, v42, v22, -v68
	;; [unrolled: 1-line block ×3, first 2 shown]
	v_fmac_f32_e32 v75, v47, v14
	v_fma_f32 v37, v56, v30, -v118
	v_add_f32_e32 v46, v34, v36
	v_add_f32_e32 v47, v35, v63
	v_mul_f32_e32 v71, v44, v13
	v_mul_f32_e32 v113, v48, v9
	;; [unrolled: 1-line block ×3, first 2 shown]
	v_fmac_f32_e32 v67, v41, v20
	v_fmac_f32_e32 v69, v43, v22
	v_fma_f32 v41, v44, v12, -v70
	v_fma_f32 v43, v48, v8, -v110
	;; [unrolled: 1-line block ×3, first 2 shown]
	v_add_f32_e32 v48, v36, v37
	v_sub_f32_e32 v50, v36, v37
	v_add_f32_e32 v36, v46, v38
	v_add_f32_e32 v46, v47, v65
	;; [unrolled: 1-line block ×4, first 2 shown]
	v_fmac_f32_e32 v71, v45, v12
	v_add_f32_e32 v36, v36, v40
	v_add_f32_e32 v46, v46, v69
	;; [unrolled: 1-line block ×4, first 2 shown]
	v_fmac_f32_e32 v113, v49, v8
	v_add_f32_e32 v36, v36, v42
	v_add_f32_e32 v46, v46, v75
	v_mul_f32_e32 v116, v53, v29
	v_mul_f32_e32 v117, v52, v29
	;; [unrolled: 1-line block ×3, first 2 shown]
	v_fmac_f32_e32 v115, v51, v10
	v_add_f32_e32 v36, v36, v43
	v_add_f32_e32 v46, v46, v113
	v_fma_f32 v45, v52, v28, -v116
	v_fmac_f32_e32 v117, v53, v28
	v_fmac_f32_e32 v119, v57, v30
	v_add_f32_e32 v36, v36, v44
	v_add_f32_e32 v46, v46, v115
	;; [unrolled: 1-line block ×3, first 2 shown]
	v_sub_f32_e32 v51, v63, v119
	v_mul_f32_e32 v52, 0xbf0a6770, v50
	v_add_f32_e32 v36, v36, v45
	v_add_f32_e32 v46, v46, v117
	v_mul_f32_e32 v62, 0xbf68dda4, v50
	v_mul_f32_e32 v68, 0xbf7d64f0, v50
	;; [unrolled: 1-line block ×5, first 2 shown]
	v_mov_b32_e32 v56, v52
	v_add_f32_e32 v36, v36, v37
	v_add_f32_e32 v37, v46, v119
	v_fma_f32 v46, v49, s4, -v52
	v_mul_f32_e32 v52, 0xbf68dda4, v51
	v_mov_b32_e32 v63, v62
	v_mul_f32_e32 v64, 0xbf7d64f0, v51
	v_mov_b32_e32 v70, v68
	;; [unrolled: 2-line block ×4, first 2 shown]
	v_fma_f32 v53, v48, s4, -v47
	v_fmac_f32_e32 v47, 0x3f575c64, v48
	v_fmac_f32_e32 v56, 0x3f575c64, v49
	v_fma_f32 v57, v48, s5, -v52
	v_fmac_f32_e32 v63, 0x3ed4b147, v49
	v_fmac_f32_e32 v52, 0x3ed4b147, v48
	v_fma_f32 v62, v49, s5, -v62
	v_fma_f32 v66, v48, s14, -v64
	v_fmac_f32_e32 v70, 0xbe11bafb, v49
	v_fmac_f32_e32 v64, 0xbe11bafb, v48
	v_fma_f32 v68, v49, s14, -v68
	;; [unrolled: 4-line block ×4, first 2 shown]
	v_add_f32_e32 v56, v35, v56
	v_add_f32_e32 v46, v35, v46
	;; [unrolled: 1-line block ×11, first 2 shown]
	v_sub_f32_e32 v38, v38, v45
	v_sub_f32_e32 v45, v65, v117
	v_mul_f32_e32 v50, 0xbf68dda4, v45
	v_add_f32_e32 v53, v34, v53
	v_add_f32_e32 v47, v34, v47
	;; [unrolled: 1-line block ×10, first 2 shown]
	v_fma_f32 v51, v48, s5, -v50
	v_add_f32_e32 v49, v65, v117
	v_add_f32_e32 v51, v51, v53
	v_mul_f32_e32 v53, 0xbf68dda4, v38
	v_fmac_f32_e32 v50, 0x3ed4b147, v48
	v_add_f32_e32 v47, v50, v47
	v_fma_f32 v50, v49, s5, -v53
	v_add_f32_e32 v46, v50, v46
	v_mul_f32_e32 v50, 0xbf4178ce, v45
	v_mov_b32_e32 v65, v53
	v_fma_f32 v53, v48, s15, -v50
	v_fmac_f32_e32 v65, 0x3ed4b147, v49
	v_add_f32_e32 v53, v53, v57
	v_mul_f32_e32 v57, 0xbf4178ce, v38
	v_add_f32_e32 v56, v65, v56
	v_mov_b32_e32 v65, v57
	v_fmac_f32_e32 v50, 0xbf27a4f4, v48
	v_fmac_f32_e32 v65, 0xbf27a4f4, v49
	v_add_f32_e32 v50, v50, v52
	v_fma_f32 v52, v49, s15, -v57
	v_mul_f32_e32 v57, 0x3e903f40, v45
	v_add_f32_e32 v63, v65, v63
	v_add_f32_e32 v52, v52, v62
	v_fma_f32 v62, v48, s16, -v57
	v_mul_f32_e32 v65, 0x3e903f40, v38
	v_add_f32_e32 v62, v62, v66
	v_mov_b32_e32 v66, v65
	v_fmac_f32_e32 v57, 0xbf75a155, v48
	v_fmac_f32_e32 v66, 0xbf75a155, v49
	v_add_f32_e32 v57, v57, v64
	v_fma_f32 v64, v49, s16, -v65
	v_mul_f32_e32 v65, 0x3f7d64f0, v45
	v_add_f32_e32 v66, v66, v70
	v_add_f32_e32 v64, v64, v68
	v_fma_f32 v68, v48, s14, -v65
	v_mul_f32_e32 v70, 0x3f7d64f0, v38
	v_add_f32_e32 v68, v68, v110
	v_mov_b32_e32 v110, v70
	v_fma_f32 v70, v49, s14, -v70
	v_mul_f32_e32 v38, 0x3f0a6770, v38
	v_add_f32_e32 v70, v70, v114
	v_mov_b32_e32 v114, v38
	v_fma_f32 v38, v49, s4, -v38
	v_fmac_f32_e32 v65, 0xbe11bafb, v48
	v_mul_f32_e32 v45, 0x3f0a6770, v45
	v_add_f32_e32 v35, v38, v35
	v_add_f32_e32 v38, v39, v44
	v_sub_f32_e32 v39, v39, v44
	v_sub_f32_e32 v44, v67, v115
	v_add_f32_e32 v65, v65, v74
	v_fma_f32 v74, v48, s4, -v45
	v_fmac_f32_e32 v45, 0x3f575c64, v48
	v_mul_f32_e32 v48, 0xbf7d64f0, v44
	v_fmac_f32_e32 v110, 0xbe11bafb, v49
	v_fmac_f32_e32 v114, 0x3f575c64, v49
	v_fma_f32 v49, v38, s14, -v48
	v_add_f32_e32 v34, v45, v34
	v_add_f32_e32 v45, v67, v115
	v_add_f32_e32 v49, v49, v51
	v_mul_f32_e32 v51, 0xbf7d64f0, v39
	v_fmac_f32_e32 v48, 0xbe11bafb, v38
	v_add_f32_e32 v47, v48, v47
	v_fma_f32 v48, v45, s14, -v51
	v_add_f32_e32 v46, v48, v46
	v_mul_f32_e32 v48, 0x3e903f40, v44
	v_mov_b32_e32 v67, v51
	v_fma_f32 v51, v38, s16, -v48
	v_add_f32_e32 v51, v51, v53
	v_mul_f32_e32 v53, 0x3e903f40, v39
	v_fmac_f32_e32 v48, 0xbf75a155, v38
	v_add_f32_e32 v48, v48, v50
	v_fma_f32 v50, v45, s16, -v53
	v_fmac_f32_e32 v67, 0xbe11bafb, v45
	v_add_f32_e32 v50, v50, v52
	v_mul_f32_e32 v52, 0x3f68dda4, v44
	v_add_f32_e32 v56, v67, v56
	v_mov_b32_e32 v67, v53
	v_fma_f32 v53, v38, s5, -v52
	v_fmac_f32_e32 v67, 0xbf75a155, v45
	v_add_f32_e32 v53, v53, v62
	v_mul_f32_e32 v62, 0x3f68dda4, v39
	v_add_f32_e32 v63, v67, v63
	v_mov_b32_e32 v67, v62
	v_fmac_f32_e32 v52, 0x3ed4b147, v38
	v_fmac_f32_e32 v67, 0x3ed4b147, v45
	v_add_f32_e32 v52, v52, v57
	v_fma_f32 v57, v45, s5, -v62
	v_mul_f32_e32 v62, 0xbf0a6770, v44
	v_add_f32_e32 v66, v67, v66
	v_add_f32_e32 v57, v57, v64
	v_fma_f32 v64, v38, s4, -v62
	v_mul_f32_e32 v67, 0xbf0a6770, v39
	v_fmac_f32_e32 v62, 0x3f575c64, v38
	v_mul_f32_e32 v44, 0xbf4178ce, v44
	v_mul_f32_e32 v39, 0xbf4178ce, v39
	v_add_f32_e32 v64, v64, v68
	v_mov_b32_e32 v68, v67
	v_add_f32_e32 v62, v62, v65
	v_fma_f32 v65, v45, s4, -v67
	v_fma_f32 v67, v38, s15, -v44
	v_fmac_f32_e32 v44, 0xbf27a4f4, v38
	v_fma_f32 v38, v45, s15, -v39
	v_add_f32_e32 v35, v38, v35
	v_add_f32_e32 v38, v40, v43
	v_sub_f32_e32 v40, v40, v43
	v_sub_f32_e32 v43, v69, v113
	v_add_f32_e32 v65, v65, v70
	v_mov_b32_e32 v70, v39
	v_add_f32_e32 v34, v44, v34
	v_mul_f32_e32 v44, 0xbf4178ce, v43
	v_fmac_f32_e32 v68, 0x3f575c64, v45
	v_fmac_f32_e32 v70, 0xbf27a4f4, v45
	v_fma_f32 v45, v38, s15, -v44
	v_add_f32_e32 v39, v69, v113
	v_add_f32_e32 v45, v45, v49
	v_mul_f32_e32 v49, 0xbf4178ce, v40
	v_fmac_f32_e32 v44, 0xbf27a4f4, v38
	v_add_f32_e32 v44, v44, v47
	v_fma_f32 v47, v39, s15, -v49
	v_add_f32_e32 v46, v47, v46
	v_mul_f32_e32 v47, 0x3f7d64f0, v43
	v_mov_b32_e32 v69, v49
	v_fma_f32 v49, v38, s14, -v47
	v_add_f32_e32 v49, v49, v51
	v_mul_f32_e32 v51, 0x3f7d64f0, v40
	v_fmac_f32_e32 v47, 0xbe11bafb, v38
	v_add_f32_e32 v47, v47, v48
	v_fma_f32 v48, v39, s14, -v51
	v_fmac_f32_e32 v69, 0xbf27a4f4, v39
	v_add_f32_e32 v48, v48, v50
	v_mul_f32_e32 v50, 0xbf0a6770, v43
	v_add_f32_e32 v56, v69, v56
	v_mov_b32_e32 v69, v51
	v_fma_f32 v51, v38, s4, -v50
	v_fmac_f32_e32 v69, 0xbe11bafb, v39
	v_add_f32_e32 v51, v51, v53
	v_mul_f32_e32 v53, 0xbf0a6770, v40
	v_fmac_f32_e32 v50, 0x3f575c64, v38
	v_add_f32_e32 v63, v69, v63
	v_mov_b32_e32 v69, v53
	v_add_f32_e32 v50, v50, v52
	v_fma_f32 v52, v39, s4, -v53
	v_mul_f32_e32 v53, 0xbe903f40, v43
	v_add_f32_e32 v52, v52, v57
	v_fma_f32 v57, v38, s16, -v53
	v_add_f32_e32 v57, v57, v64
	v_mul_f32_e32 v64, 0xbe903f40, v40
	v_fmac_f32_e32 v53, 0xbf75a155, v38
	v_add_f32_e32 v110, v110, v116
	v_add_f32_e32 v74, v74, v118
	v_fmac_f32_e32 v69, 0x3f575c64, v39
	v_add_f32_e32 v53, v53, v62
	v_fma_f32 v62, v39, s16, -v64
	v_mul_f32_e32 v43, 0x3f68dda4, v43
	v_mul_f32_e32 v40, 0x3f68dda4, v40
	v_add_f32_e32 v114, v114, v119
	v_add_f32_e32 v68, v68, v110
	;; [unrolled: 1-line block ×4, first 2 shown]
	v_mov_b32_e32 v69, v64
	v_add_f32_e32 v62, v62, v65
	v_fma_f32 v64, v38, s5, -v43
	v_mov_b32_e32 v65, v40
	v_fmac_f32_e32 v43, 0x3ed4b147, v38
	v_sub_f32_e32 v110, v41, v42
	v_add_f32_e32 v70, v70, v114
	v_fmac_f32_e32 v69, 0xbf75a155, v39
	v_add_f32_e32 v64, v64, v67
	v_fmac_f32_e32 v65, 0x3ed4b147, v39
	v_add_f32_e32 v67, v43, v34
	v_fma_f32 v34, v39, s5, -v40
	v_add_f32_e32 v74, v71, v75
	v_sub_f32_e32 v71, v71, v75
	v_mul_f32_e32 v39, 0xbe903f40, v110
	v_add_f32_e32 v68, v69, v68
	v_add_f32_e32 v65, v65, v70
	;; [unrolled: 1-line block ×4, first 2 shown]
	v_mul_f32_e32 v38, 0xbe903f40, v71
	v_mov_b32_e32 v35, v39
	v_fma_f32 v39, v74, s16, -v39
	v_fma_f32 v34, v70, s16, -v38
	v_fmac_f32_e32 v38, 0xbf75a155, v70
	v_add_f32_e32 v39, v39, v46
	v_mul_f32_e32 v46, 0xbf4178ce, v71
	v_add_f32_e32 v38, v38, v44
	v_mul_f32_e32 v43, 0x3f0a6770, v110
	v_fma_f32 v44, v70, s15, -v46
	v_fmac_f32_e32 v46, 0xbf27a4f4, v70
	v_mul_f32_e32 v42, 0x3f0a6770, v71
	v_mov_b32_e32 v41, v43
	v_fma_f32 v43, v74, s4, -v43
	v_add_f32_e32 v46, v46, v50
	v_mul_f32_e32 v50, 0x3f68dda4, v71
	v_fma_f32 v40, v70, s4, -v42
	v_fmac_f32_e32 v42, 0x3f575c64, v70
	v_add_f32_e32 v43, v43, v48
	v_fma_f32 v48, v70, s5, -v50
	v_fmac_f32_e32 v35, 0xbf75a155, v74
	v_add_f32_e32 v42, v42, v47
	v_mul_f32_e32 v47, 0xbf4178ce, v110
	v_add_f32_e32 v48, v48, v57
	v_fmac_f32_e32 v50, 0x3ed4b147, v70
	v_mul_f32_e32 v57, 0xbf7d64f0, v110
	v_add_f32_e32 v34, v34, v45
	v_add_f32_e32 v35, v35, v56
	;; [unrolled: 1-line block ×3, first 2 shown]
	v_mov_b32_e32 v45, v47
	v_fma_f32 v47, v74, s15, -v47
	v_mul_f32_e32 v51, 0x3f68dda4, v110
	v_add_f32_e32 v50, v50, v53
	v_mul_f32_e32 v56, 0xbf7d64f0, v71
	v_mov_b32_e32 v53, v57
	v_add_f32_e32 v40, v40, v49
	v_add_f32_e32 v47, v47, v52
	v_mov_b32_e32 v49, v51
	v_fma_f32 v52, v70, s14, -v56
	v_fmac_f32_e32 v53, 0xbe11bafb, v74
	v_fmac_f32_e32 v41, 0x3f575c64, v74
	;; [unrolled: 1-line block ×4, first 2 shown]
	v_fma_f32 v51, v74, s5, -v51
	v_add_f32_e32 v52, v52, v64
	v_add_f32_e32 v53, v53, v65
	v_fmac_f32_e32 v56, 0xbe11bafb, v70
	v_fma_f32 v57, v74, s14, -v57
	v_add_lshl_u32 v110, v58, v59, 3
	v_add_f32_e32 v41, v41, v63
	v_add_f32_e32 v45, v45, v66
	v_add_f32_e32 v49, v49, v68
	v_add_f32_e32 v51, v51, v62
	v_add_f32_e32 v56, v56, v67
	v_add_f32_e32 v57, v57, v69
	ds_write2_b64 v110, v[36:37], v[34:35] offset1:10
	ds_write2_b64 v110, v[40:41], v[44:45] offset0:20 offset1:30
	ds_write2_b64 v110, v[48:49], v[52:53] offset0:40 offset1:50
	;; [unrolled: 1-line block ×4, first 2 shown]
	ds_write_b64 v110, v[38:39] offset:800
	v_mad_u64_u32 v[52:53], s[18:19], v102, s18, v[32:33]
	s_waitcnt lgkmcnt(0)
	s_barrier
	global_load_dwordx4 v[44:47], v[52:53], off offset:864
	global_load_dwordx4 v[40:43], v[52:53], off offset:880
	;; [unrolled: 1-line block ×5, first 2 shown]
	ds_read2_b64 v[56:59], v99 offset1:110
	ds_read2_b64 v[62:65], v60 offset0:92 offset1:202
	ds_read2_b64 v[66:69], v54 offset0:56 offset1:166
	;; [unrolled: 1-line block ×4, first 2 shown]
	ds_read_b64 v[52:53], v99 offset:8800
	s_waitcnt vmcnt(4) lgkmcnt(5)
	v_mul_f32_e32 v70, v59, v45
	v_fma_f32 v70, v58, v44, -v70
	v_mul_f32_e32 v58, v58, v45
	v_fmac_f32_e32 v58, v59, v44
	s_waitcnt lgkmcnt(4)
	v_mul_f32_e32 v59, v63, v47
	v_fma_f32 v59, v62, v46, -v59
	v_mul_f32_e32 v62, v62, v47
	v_fmac_f32_e32 v62, v63, v46
	s_waitcnt vmcnt(3)
	v_mul_f32_e32 v63, v65, v41
	v_fma_f32 v63, v64, v40, -v63
	v_mul_f32_e32 v64, v64, v41
	v_fmac_f32_e32 v64, v65, v40
	s_waitcnt lgkmcnt(3)
	v_mul_f32_e32 v65, v67, v43
	v_fma_f32 v65, v66, v42, -v65
	v_mul_f32_e32 v66, v66, v43
	v_fmac_f32_e32 v66, v67, v42
	s_waitcnt vmcnt(2)
	v_mul_f32_e32 v67, v69, v37
	v_fma_f32 v67, v68, v36, -v67
	v_mul_f32_e32 v68, v68, v37
	v_fmac_f32_e32 v68, v69, v36
	s_waitcnt lgkmcnt(2)
	v_mul_f32_e32 v69, v114, v39
	v_mul_f32_e32 v71, v113, v39
	v_fma_f32 v69, v113, v38, -v69
	v_fmac_f32_e32 v71, v114, v38
	s_waitcnt vmcnt(1) lgkmcnt(1)
	v_mul_f32_e32 v113, v118, v35
	v_mul_f32_e32 v114, v117, v35
	v_fma_f32 v113, v117, v34, -v113
	v_fmac_f32_e32 v114, v118, v34
	s_waitcnt vmcnt(0) lgkmcnt(0)
	v_mul_f32_e32 v117, v53, v51
	v_mul_f32_e32 v118, v52, v51
	;; [unrolled: 1-line block ×3, first 2 shown]
	v_fma_f32 v117, v52, v50, -v117
	v_fmac_f32_e32 v118, v53, v50
	v_fma_f32 v74, v115, v32, -v74
	v_mul_f32_e32 v75, v115, v33
	v_mul_f32_e32 v115, v120, v49
	v_sub_f32_e32 v53, v58, v118
	v_sub_f32_e32 v128, v70, v117
	v_fmac_f32_e32 v75, v116, v32
	v_fma_f32 v115, v119, v48, -v115
	v_mul_f32_e32 v116, v119, v49
	v_add_f32_e32 v52, v70, v117
	v_mul_f32_e32 v119, 0xbf0a6770, v53
	v_mul_f32_e32 v121, 0xbf68dda4, v53
	;; [unrolled: 1-line block ×10, first 2 shown]
	v_fmac_f32_e32 v116, v120, v48
	v_fma_f32 v120, v52, s4, -v119
	v_fmac_f32_e32 v119, 0x3f575c64, v52
	v_fma_f32 v122, v52, s5, -v121
	;; [unrolled: 2-line block ×5, first 2 shown]
	v_fmac_f32_e32 v53, 0xbf75a155, v52
	v_add_f32_e32 v52, v58, v118
	v_mov_b32_e32 v130, v129
	v_mov_b32_e32 v132, v131
	;; [unrolled: 1-line block ×5, first 2 shown]
	v_fmac_f32_e32 v130, 0x3f575c64, v52
	v_fma_f32 v129, v52, s4, -v129
	v_fmac_f32_e32 v132, 0x3ed4b147, v52
	v_fma_f32 v131, v52, s5, -v131
	;; [unrolled: 2-line block ×5, first 2 shown]
	v_add_f32_e32 v70, v56, v70
	v_add_f32_e32 v58, v57, v58
	;; [unrolled: 1-line block ×36, first 2 shown]
	v_sub_f32_e32 v62, v62, v116
	v_add_f32_e32 v53, v53, v114
	v_add_f32_e32 v52, v52, v115
	;; [unrolled: 1-line block ×3, first 2 shown]
	v_sub_f32_e32 v59, v59, v115
	v_mul_f32_e32 v115, 0xbf68dda4, v62
	v_add_f32_e32 v53, v53, v116
	v_fma_f32 v116, v58, s5, -v115
	v_fmac_f32_e32 v115, 0x3ed4b147, v58
	v_add_f32_e32 v52, v52, v117
	v_mul_f32_e32 v117, 0xbf68dda4, v59
	v_add_f32_e32 v115, v115, v119
	v_mul_f32_e32 v119, 0xbf4178ce, v62
	v_add_f32_e32 v53, v53, v118
	v_add_f32_e32 v116, v116, v120
	v_mov_b32_e32 v118, v117
	v_fma_f32 v120, v58, s15, -v119
	v_fmac_f32_e32 v118, 0x3ed4b147, v70
	v_add_f32_e32 v120, v120, v122
	v_mul_f32_e32 v122, 0xbf4178ce, v59
	v_fmac_f32_e32 v119, 0xbf27a4f4, v58
	v_add_f32_e32 v118, v118, v128
	v_fma_f32 v117, v70, s5, -v117
	v_mov_b32_e32 v128, v122
	v_add_f32_e32 v119, v119, v121
	v_fma_f32 v121, v70, s15, -v122
	v_mul_f32_e32 v122, 0x3e903f40, v62
	v_add_f32_e32 v117, v117, v129
	v_fma_f32 v129, v58, s16, -v122
	v_fmac_f32_e32 v128, 0xbf27a4f4, v70
	v_add_f32_e32 v124, v129, v124
	v_mul_f32_e32 v129, 0x3e903f40, v59
	v_fmac_f32_e32 v122, 0xbf75a155, v58
	v_add_f32_e32 v128, v128, v130
	v_mov_b32_e32 v130, v129
	v_add_f32_e32 v122, v122, v123
	v_fma_f32 v123, v70, s16, -v129
	v_mul_f32_e32 v129, 0x3f7d64f0, v62
	v_add_f32_e32 v121, v121, v131
	v_fma_f32 v131, v58, s14, -v129
	v_fmac_f32_e32 v130, 0xbf75a155, v70
	v_add_f32_e32 v126, v131, v126
	v_mul_f32_e32 v131, 0x3f7d64f0, v59
	v_fmac_f32_e32 v129, 0xbe11bafb, v58
	v_mul_f32_e32 v62, 0x3f0a6770, v62
	v_mul_f32_e32 v59, 0x3f0a6770, v59
	v_add_f32_e32 v130, v130, v132
	v_mov_b32_e32 v132, v131
	v_add_f32_e32 v125, v129, v125
	v_fma_f32 v129, v70, s14, -v131
	v_fma_f32 v131, v58, s4, -v62
	v_fmac_f32_e32 v62, 0x3f575c64, v58
	v_fma_f32 v58, v70, s4, -v59
	v_add_f32_e32 v127, v131, v127
	v_mov_b32_e32 v131, v59
	v_add_f32_e32 v57, v58, v57
	v_add_f32_e32 v58, v63, v113
	v_sub_f32_e32 v59, v63, v113
	v_sub_f32_e32 v63, v64, v114
	v_add_f32_e32 v56, v62, v56
	v_add_f32_e32 v62, v64, v114
	v_mul_f32_e32 v64, 0xbf7d64f0, v63
	v_fmac_f32_e32 v132, 0xbe11bafb, v70
	v_fmac_f32_e32 v131, 0x3f575c64, v70
	v_fma_f32 v70, v58, s14, -v64
	v_mul_f32_e32 v113, 0xbf7d64f0, v59
	v_fmac_f32_e32 v64, 0xbe11bafb, v58
	v_mov_b32_e32 v114, v113
	v_add_f32_e32 v64, v64, v115
	v_fma_f32 v113, v62, s14, -v113
	v_mul_f32_e32 v115, 0x3e903f40, v63
	v_add_f32_e32 v70, v70, v116
	v_fmac_f32_e32 v114, 0xbe11bafb, v62
	v_add_f32_e32 v113, v113, v117
	v_fma_f32 v116, v58, s16, -v115
	v_mul_f32_e32 v117, 0x3e903f40, v59
	v_fmac_f32_e32 v115, 0xbf75a155, v58
	v_add_f32_e32 v114, v114, v118
	v_mov_b32_e32 v118, v117
	v_add_f32_e32 v115, v115, v119
	v_fma_f32 v117, v62, s16, -v117
	v_mul_f32_e32 v119, 0x3f68dda4, v63
	v_add_f32_e32 v116, v116, v120
	v_add_f32_e32 v117, v117, v121
	v_fma_f32 v120, v58, s5, -v119
	v_mul_f32_e32 v121, 0x3f68dda4, v59
	v_fmac_f32_e32 v119, 0x3ed4b147, v58
	v_add_f32_e32 v123, v123, v133
	v_add_f32_e32 v120, v120, v124
	v_mov_b32_e32 v124, v121
	v_add_f32_e32 v119, v119, v122
	v_fma_f32 v121, v62, s5, -v121
	v_mul_f32_e32 v122, 0xbf0a6770, v63
	v_add_f32_e32 v121, v121, v123
	v_fma_f32 v123, v58, s4, -v122
	v_fmac_f32_e32 v118, 0xbf75a155, v62
	v_add_f32_e32 v123, v123, v126
	v_mul_f32_e32 v126, 0xbf0a6770, v59
	v_fmac_f32_e32 v122, 0x3f575c64, v58
	v_mul_f32_e32 v63, 0xbf4178ce, v63
	v_add_f32_e32 v118, v118, v128
	v_mov_b32_e32 v128, v126
	v_add_f32_e32 v122, v122, v125
	v_fma_f32 v125, v62, s4, -v126
	v_fma_f32 v126, v58, s15, -v63
	v_mul_f32_e32 v59, 0xbf4178ce, v59
	v_fmac_f32_e32 v63, 0xbf27a4f4, v58
	v_add_f32_e32 v126, v126, v127
	v_mov_b32_e32 v127, v59
	v_add_f32_e32 v56, v63, v56
	v_fma_f32 v58, v62, s15, -v59
	v_sub_f32_e32 v63, v66, v75
	v_fmac_f32_e32 v124, 0x3ed4b147, v62
	v_fmac_f32_e32 v128, 0x3f575c64, v62
	;; [unrolled: 1-line block ×3, first 2 shown]
	v_add_f32_e32 v57, v58, v57
	v_add_f32_e32 v58, v65, v74
	v_sub_f32_e32 v62, v65, v74
	v_mul_f32_e32 v65, 0xbf4178ce, v63
	v_add_f32_e32 v59, v66, v75
	v_fma_f32 v66, v58, s15, -v65
	v_add_f32_e32 v66, v66, v70
	v_mul_f32_e32 v70, 0xbf4178ce, v62
	v_fmac_f32_e32 v65, 0xbf27a4f4, v58
	v_mov_b32_e32 v74, v70
	v_add_f32_e32 v64, v65, v64
	v_fma_f32 v65, v59, s15, -v70
	v_mul_f32_e32 v70, 0x3f7d64f0, v63
	v_fma_f32 v75, v58, s14, -v70
	v_fmac_f32_e32 v74, 0xbf27a4f4, v59
	v_add_f32_e32 v65, v65, v113
	v_add_f32_e32 v113, v75, v116
	v_mul_f32_e32 v75, 0x3f7d64f0, v62
	v_add_f32_e32 v74, v74, v114
	v_mov_b32_e32 v114, v75
	v_fmac_f32_e32 v70, 0xbe11bafb, v58
	v_fma_f32 v75, v59, s14, -v75
	v_add_f32_e32 v70, v70, v115
	v_add_f32_e32 v115, v75, v117
	v_mul_f32_e32 v75, 0xbf0a6770, v63
	v_fma_f32 v116, v58, s4, -v75
	v_mul_f32_e32 v117, 0xbf0a6770, v62
	v_fmac_f32_e32 v75, 0x3f575c64, v58
	v_fmac_f32_e32 v114, 0xbe11bafb, v59
	v_add_f32_e32 v119, v75, v119
	v_fma_f32 v75, v59, s4, -v117
	v_add_f32_e32 v114, v114, v118
	v_mov_b32_e32 v118, v117
	v_add_f32_e32 v117, v75, v121
	v_mul_f32_e32 v75, 0xbe903f40, v63
	v_add_f32_e32 v116, v116, v120
	v_fma_f32 v120, v58, s16, -v75
	v_fmac_f32_e32 v75, 0xbf75a155, v58
	v_add_f32_e32 v129, v129, v135
	v_add_f32_e32 v124, v124, v130
	v_fmac_f32_e32 v118, 0x3f575c64, v59
	v_mul_f32_e32 v121, 0xbe903f40, v62
	v_add_f32_e32 v122, v75, v122
	v_mov_b32_e32 v75, s17
	v_add_f32_e32 v125, v125, v129
	v_add_f32_e32 v118, v118, v124
	v_addc_co_u32_e64 v124, vcc, 0, v75, s[6:7]
	v_fma_f32 v75, v59, s16, -v121
	v_mul_f32_e32 v63, 0x3f68dda4, v63
	v_add_f32_e32 v120, v120, v123
	v_mov_b32_e32 v123, v121
	v_add_f32_e32 v121, v75, v125
	v_fma_f32 v75, v58, s5, -v63
	v_mul_f32_e32 v62, 0x3f68dda4, v62
	v_add_f32_e32 v132, v132, v134
	v_add_f32_e32 v131, v131, v136
	;; [unrolled: 1-line block ×3, first 2 shown]
	v_mov_b32_e32 v75, v62
	v_add_f32_e32 v128, v128, v132
	v_add_f32_e32 v127, v127, v131
	v_fmac_f32_e32 v75, 0x3ed4b147, v59
	v_fmac_f32_e32 v63, 0x3ed4b147, v58
	v_sub_f32_e32 v131, v67, v69
	v_sub_f32_e32 v132, v68, v71
	v_fmac_f32_e32 v123, 0xbf75a155, v59
	v_add_f32_e32 v126, v75, v127
	v_add_f32_e32 v127, v63, v56
	v_fma_f32 v56, v59, s5, -v62
	v_add_f32_e32 v129, v67, v69
	v_mul_f32_e32 v58, 0xbe903f40, v132
	v_mul_f32_e32 v59, 0xbe903f40, v131
	v_add_f32_e32 v123, v123, v128
	v_add_f32_e32 v128, v56, v57
	;; [unrolled: 1-line block ×3, first 2 shown]
	v_fma_f32 v56, v129, s16, -v58
	v_mov_b32_e32 v57, v59
	v_add_f32_e32 v56, v56, v66
	v_fmac_f32_e32 v57, 0xbf75a155, v130
	v_fmac_f32_e32 v58, 0xbf75a155, v129
	v_mul_f32_e32 v63, 0x3f0a6770, v131
	v_mul_f32_e32 v66, 0xbf4178ce, v132
	v_add_f32_e32 v57, v57, v74
	v_add_f32_e32 v74, v58, v64
	v_fma_f32 v58, v130, s16, -v59
	v_mul_f32_e32 v62, 0x3f0a6770, v132
	v_mov_b32_e32 v59, v63
	v_fma_f32 v64, v129, s15, -v66
	v_add_f32_e32 v75, v58, v65
	v_fma_f32 v58, v129, s4, -v62
	v_fmac_f32_e32 v59, 0x3f575c64, v130
	v_fmac_f32_e32 v62, 0x3f575c64, v129
	v_fma_f32 v63, v130, s4, -v63
	v_add_f32_e32 v64, v64, v116
	v_mul_f32_e32 v67, 0xbf4178ce, v131
	v_mul_f32_e32 v71, 0x3f68dda4, v131
	;; [unrolled: 1-line block ×3, first 2 shown]
	v_add_f32_e32 v59, v59, v114
	v_add_f32_e32 v62, v62, v70
	;; [unrolled: 1-line block ×3, first 2 shown]
	v_mov_b32_e32 v65, v67
	v_mul_f32_e32 v70, 0x3f68dda4, v132
	v_mov_b32_e32 v69, v71
	v_mul_f32_e32 v115, 0xbf7d64f0, v132
	v_mov_b32_e32 v114, v116
	v_add_f32_e32 v58, v58, v113
	v_fmac_f32_e32 v65, 0xbf27a4f4, v130
	v_fmac_f32_e32 v66, 0xbf27a4f4, v129
	v_fma_f32 v67, v130, s15, -v67
	v_fma_f32 v68, v129, s5, -v70
	v_fmac_f32_e32 v69, 0x3ed4b147, v130
	v_fmac_f32_e32 v70, 0x3ed4b147, v129
	v_fma_f32 v71, v130, s5, -v71
	v_fma_f32 v113, v129, s14, -v115
	v_fmac_f32_e32 v114, 0xbe11bafb, v130
	v_fmac_f32_e32 v115, 0xbe11bafb, v129
	v_fma_f32 v116, v130, s14, -v116
	s_movk_i32 s5, 0x2000
	v_add_f32_e32 v65, v65, v118
	v_add_f32_e32 v66, v66, v119
	;; [unrolled: 1-line block ×11, first 2 shown]
	ds_write2_b64 v99, v[52:53], v[56:57] offset1:110
	ds_write2_b64 v60, v[58:59], v[64:65] offset0:92 offset1:202
	ds_write2_b64 v54, v[68:69], v[113:114] offset0:56 offset1:166
	;; [unrolled: 1-line block ×4, first 2 shown]
	ds_write_b64 v99, v[74:75] offset:8800
	v_add_co_u32_e32 v52, vcc, s5, v100
	v_addc_co_u32_e32 v53, vcc, 0, v124, vcc
	s_waitcnt lgkmcnt(0)
	s_barrier
	s_movk_i32 s4, 0x25d0
	global_load_dwordx2 v[62:63], v[52:53], off offset:1488
	v_add_co_u32_e32 v52, vcc, s4, v100
	v_addc_co_u32_e32 v53, vcc, 0, v124, vcc
	global_load_dwordx2 v[66:67], v[52:53], off offset:880
	s_movk_i32 s4, 0x3000
	v_add_co_u32_e32 v56, vcc, s4, v100
	v_addc_co_u32_e32 v57, vcc, 0, v124, vcc
	global_load_dwordx2 v[68:69], v[56:57], off offset:2232
	global_load_dwordx2 v[70:71], v[56:57], off offset:3112
	;; [unrolled: 1-line block ×5, first 2 shown]
	s_movk_i32 s4, 0x4000
	v_add_co_u32_e32 v56, vcc, s4, v100
	v_addc_co_u32_e32 v57, vcc, 0, v124, vcc
	global_load_dwordx2 v[119:120], v[56:57], off offset:776
	global_load_dwordx2 v[121:122], v[52:53], off offset:3520
	;; [unrolled: 1-line block ×3, first 2 shown]
	ds_read2_b64 v[56:59], v99 offset1:110
	s_waitcnt vmcnt(9) lgkmcnt(0)
	v_mul_f32_e32 v64, v57, v63
	v_mul_f32_e32 v65, v56, v63
	v_fma_f32 v64, v56, v62, -v64
	v_fmac_f32_e32 v65, v57, v62
	ds_write_b64 v99, v[64:65]
	ds_read2_b64 v[62:65], v54 offset0:56 offset1:221
	s_waitcnt vmcnt(8)
	v_mul_f32_e32 v56, v59, v67
	v_mul_f32_e32 v126, v58, v67
	v_fma_f32 v125, v58, v66, -v56
	v_fmac_f32_e32 v126, v59, v66
	ds_read2_b64 v[56:59], v61 offset0:75 offset1:185
	s_waitcnt vmcnt(7) lgkmcnt(1)
	v_mul_f32_e32 v66, v65, v69
	v_fma_f32 v127, v64, v68, -v66
	v_mul_f32_e32 v128, v64, v69
	v_fmac_f32_e32 v128, v65, v68
	s_waitcnt vmcnt(6) lgkmcnt(0)
	v_mul_f32_e32 v64, v57, v71
	v_fma_f32 v68, v56, v70, -v64
	ds_read2_b64 v[64:67], v60 offset0:92 offset1:202
	v_mul_f32_e32 v69, v56, v71
	v_fmac_f32_e32 v69, v57, v70
	v_add_u32_e32 v56, 0x1000, v99
	ds_write2_b64 v56, v[127:128], v[68:69] offset0:93 offset1:203
	s_waitcnt vmcnt(5) lgkmcnt(1)
	v_mul_f32_e32 v56, v65, v114
	v_mul_f32_e32 v57, v64, v114
	v_fma_f32 v56, v64, v113, -v56
	v_fmac_f32_e32 v57, v65, v113
	ds_write2_b64 v99, v[125:126], v[56:57] offset0:110 offset1:220
	s_waitcnt vmcnt(4)
	v_mul_f32_e32 v56, v59, v116
	v_mul_f32_e32 v69, v58, v116
	v_add_u32_e32 v64, 0x1c00, v99
	v_fma_f32 v68, v58, v115, -v56
	v_fmac_f32_e32 v69, v59, v115
	ds_read2_b64 v[56:59], v64 offset0:39 offset1:149
	s_waitcnt vmcnt(3)
	v_mul_f32_e32 v65, v67, v118
	v_fma_f32 v65, v66, v117, -v65
	v_mul_f32_e32 v66, v66, v118
	v_fmac_f32_e32 v66, v67, v117
	s_waitcnt vmcnt(2) lgkmcnt(0)
	v_mul_f32_e32 v67, v57, v120
	v_mul_f32_e32 v71, v56, v120
	v_fma_f32 v70, v56, v119, -v67
	v_fmac_f32_e32 v71, v57, v119
	ds_write2_b64 v55, v[68:69], v[70:71] offset0:57 offset1:167
	s_waitcnt vmcnt(1)
	v_mul_f32_e32 v55, v63, v122
	v_mul_f32_e32 v56, v62, v122
	v_fma_f32 v55, v62, v121, -v55
	v_fmac_f32_e32 v56, v63, v121
	v_add_u32_e32 v57, 0x800, v99
	ds_write2_b64 v57, v[65:66], v[55:56] offset0:74 offset1:184
	s_waitcnt vmcnt(0)
	v_mul_f32_e32 v55, v59, v124
	v_mul_f32_e32 v56, v58, v124
	v_fma_f32 v55, v58, v123, -v55
	v_fmac_f32_e32 v56, v59, v123
	ds_write_b64 v99, v[55:56] offset:8360
	s_and_saveexec_b64 s[4:5], s[0:1]
	s_cbranch_execz .LBB0_13
; %bb.12:
	v_add_co_u32_e32 v55, vcc, 0x1000, v52
	v_addc_co_u32_e32 v56, vcc, 0, v53, vcc
	v_add_co_u32_e32 v52, vcc, 0x2000, v52
	global_load_dwordx2 v[55:56], v[55:56], off offset:304
	v_addc_co_u32_e32 v53, vcc, 0, v53, vcc
	global_load_dwordx2 v[52:53], v[52:53], off offset:1048
	ds_read_b64 v[57:58], v99 offset:4400
	ds_read_b64 v[62:63], v99 offset:9240
	s_waitcnt vmcnt(1) lgkmcnt(1)
	v_mul_f32_e32 v59, v58, v56
	v_mul_f32_e32 v66, v57, v56
	v_fma_f32 v65, v57, v55, -v59
	v_fmac_f32_e32 v66, v58, v55
	s_waitcnt vmcnt(0) lgkmcnt(0)
	v_mul_f32_e32 v55, v63, v53
	v_mul_f32_e32 v56, v62, v53
	v_fma_f32 v55, v62, v52, -v55
	v_fmac_f32_e32 v56, v63, v52
	ds_write_b64 v99, v[65:66] offset:4400
	ds_write_b64 v99, v[55:56] offset:9240
.LBB0_13:
	s_or_b64 exec, exec, s[4:5]
	s_waitcnt lgkmcnt(0)
	s_barrier
	ds_read2_b64 v[56:59], v99 offset1:110
	ds_read2_b64 v[52:55], v54 offset0:56 offset1:221
	ds_read2_b64 v[68:71], v61 offset0:75 offset1:185
	;; [unrolled: 1-line block ×4, first 2 shown]
	v_add_u32_e32 v113, 0x14a0, v108
	v_add_u32_e32 v108, 0x1b80, v108
	s_and_saveexec_b64 s[4:5], s[0:1]
	s_cbranch_execz .LBB0_15
; %bb.14:
	ds_read_b64 v[74:75], v99 offset:4400
	ds_read_b64 v[72:73], v99 offset:9240
.LBB0_15:
	s_or_b64 exec, exec, s[4:5]
	s_waitcnt lgkmcnt(3)
	v_sub_f32_e32 v116, v56, v54
	v_sub_f32_e32 v117, v57, v55
	s_waitcnt lgkmcnt(2)
	v_sub_f32_e32 v120, v58, v68
	v_sub_f32_e32 v121, v59, v69
	;; [unrolled: 3-line block ×3, first 2 shown]
	v_sub_f32_e32 v54, v74, v72
	v_sub_f32_e32 v55, v75, v73
	v_fma_f32 v114, v56, 2.0, -v116
	v_fma_f32 v115, v57, 2.0, -v117
	;; [unrolled: 1-line block ×4, first 2 shown]
	v_sub_f32_e32 v58, v60, v70
	v_sub_f32_e32 v59, v61, v71
	;; [unrolled: 1-line block ×4, first 2 shown]
	v_fma_f32 v66, v52, 2.0, -v68
	v_fma_f32 v67, v53, 2.0, -v69
	;; [unrolled: 1-line block ×8, first 2 shown]
	s_barrier
	ds_write_b128 v105, v[114:117]
	ds_write_b128 v106, v[118:121]
	;; [unrolled: 1-line block ×5, first 2 shown]
	s_and_saveexec_b64 s[4:5], s[0:1]
	s_cbranch_execz .LBB0_17
; %bb.16:
	ds_write_b128 v104, v[52:55]
.LBB0_17:
	s_or_b64 exec, exec, s[4:5]
	v_add_u32_e32 v60, 0x400, v99
	s_waitcnt lgkmcnt(0)
	s_barrier
	ds_read2_b64 v[72:75], v60 offset0:114 offset1:224
	v_add_u32_e32 v60, 0xc00, v99
	ds_read2_b64 v[68:71], v60 offset0:100 offset1:210
	v_add_u32_e32 v60, 0x1400, v99
	;; [unrolled: 2-line block ×3, first 2 shown]
	ds_read2_b64 v[56:59], v99 offset1:110
	ds_read2_b64 v[60:63], v60 offset0:72 offset1:182
	s_and_saveexec_b64 s[4:5], s[2:3]
	s_cbranch_execz .LBB0_19
; %bb.18:
	v_add_u32_e32 v16, 0x680, v99
	ds_read2_b64 v[52:55], v16 offset0:12 offset1:254
	v_add_u32_e32 v16, 0x1600, v99
	ds_read2_b64 v[16:19], v16 offset1:242
	ds_read_b64 v[97:98], v99 offset:9504
.LBB0_19:
	s_or_b64 exec, exec, s[4:5]
	s_waitcnt lgkmcnt(4)
	v_mul_f32_e32 v104, v5, v73
	v_fmac_f32_e32 v104, v4, v72
	v_mul_f32_e32 v72, v5, v72
	v_fma_f32 v72, v4, v73, -v72
	s_waitcnt lgkmcnt(3)
	v_mul_f32_e32 v73, v7, v69
	v_fmac_f32_e32 v73, v6, v68
	v_mul_f32_e32 v68, v7, v68
	v_fma_f32 v68, v6, v69, -v68
	;; [unrolled: 5-line block ×4, first 2 shown]
	v_mul_f32_e32 v60, v5, v74
	v_fma_f32 v108, v4, v75, -v60
	v_mul_f32_e32 v60, v7, v70
	v_fma_f32 v113, v6, v71, -v60
	v_mul_f32_e32 v60, v1, v66
	v_mul_f32_e32 v116, v3, v63
	v_add_f32_e32 v61, v73, v69
	v_fma_f32 v115, v0, v67, -v60
	v_fmac_f32_e32 v116, v2, v62
	v_mul_f32_e32 v60, v3, v62
	v_fma_f32 v62, -0.5, v61, v56
	v_mul_f32_e32 v114, v1, v67
	v_sub_f32_e32 v61, v72, v106
	v_mov_b32_e32 v64, v62
	v_fmac_f32_e32 v114, v0, v66
	v_fma_f32 v117, v2, v63, -v60
	v_fmac_f32_e32 v64, 0xbf737871, v61
	v_sub_f32_e32 v63, v68, v105
	v_sub_f32_e32 v66, v104, v73
	;; [unrolled: 1-line block ×3, first 2 shown]
	v_fmac_f32_e32 v62, 0x3f737871, v61
	v_fmac_f32_e32 v64, 0xbf167918, v63
	v_add_f32_e32 v66, v66, v67
	v_fmac_f32_e32 v62, 0x3f167918, v63
	v_fmac_f32_e32 v64, 0x3e9e377a, v66
	;; [unrolled: 1-line block ×3, first 2 shown]
	v_add_f32_e32 v66, v104, v65
	v_add_f32_e32 v60, v56, v104
	v_fma_f32 v56, -0.5, v66, v56
	v_mov_b32_e32 v66, v56
	v_mul_f32_e32 v107, v5, v75
	v_mul_f32_e32 v75, v7, v71
	v_add_f32_e32 v60, v60, v73
	v_fmac_f32_e32 v66, 0x3f737871, v63
	v_fmac_f32_e32 v56, 0xbf737871, v63
	v_add_f32_e32 v63, v68, v105
	v_fmac_f32_e32 v75, v6, v70
	v_add_f32_e32 v60, v60, v69
	v_sub_f32_e32 v67, v73, v104
	v_sub_f32_e32 v70, v69, v65
	v_fma_f32 v63, -0.5, v63, v57
	v_add_f32_e32 v60, v60, v65
	v_fmac_f32_e32 v66, 0xbf167918, v61
	v_add_f32_e32 v67, v67, v70
	v_fmac_f32_e32 v56, 0x3f167918, v61
	v_sub_f32_e32 v70, v104, v65
	v_mov_b32_e32 v65, v63
	v_fmac_f32_e32 v66, 0x3e9e377a, v67
	v_fmac_f32_e32 v56, 0x3e9e377a, v67
	;; [unrolled: 1-line block ×3, first 2 shown]
	v_sub_f32_e32 v69, v73, v69
	v_sub_f32_e32 v67, v72, v68
	;; [unrolled: 1-line block ×3, first 2 shown]
	v_fmac_f32_e32 v63, 0xbf737871, v70
	v_fmac_f32_e32 v65, 0x3f167918, v69
	v_add_f32_e32 v67, v67, v71
	v_fmac_f32_e32 v63, 0xbf167918, v69
	v_fmac_f32_e32 v65, 0x3e9e377a, v67
	;; [unrolled: 1-line block ×3, first 2 shown]
	v_add_f32_e32 v67, v72, v106
	v_add_f32_e32 v61, v57, v72
	v_fma_f32 v57, -0.5, v67, v57
	v_mov_b32_e32 v67, v57
	v_fmac_f32_e32 v67, 0xbf737871, v69
	v_fmac_f32_e32 v57, 0x3f737871, v69
	v_add_f32_e32 v69, v75, v114
	v_fmac_f32_e32 v67, 0x3f167918, v70
	v_fmac_f32_e32 v57, 0xbf167918, v70
	v_fma_f32 v70, -0.5, v69, v58
	v_fmac_f32_e32 v107, v4, v74
	v_add_f32_e32 v61, v61, v68
	v_sub_f32_e32 v68, v68, v72
	v_sub_f32_e32 v71, v105, v106
	;; [unrolled: 1-line block ×3, first 2 shown]
	v_mov_b32_e32 v72, v70
	v_add_f32_e32 v68, v68, v71
	v_fmac_f32_e32 v72, 0xbf737871, v69
	v_sub_f32_e32 v71, v113, v115
	v_sub_f32_e32 v73, v107, v75
	v_sub_f32_e32 v74, v116, v114
	v_fmac_f32_e32 v70, 0x3f737871, v69
	v_fmac_f32_e32 v72, 0xbf167918, v71
	v_add_f32_e32 v73, v73, v74
	v_fmac_f32_e32 v70, 0x3f167918, v71
	v_fmac_f32_e32 v72, 0x3e9e377a, v73
	;; [unrolled: 1-line block ×3, first 2 shown]
	v_add_f32_e32 v73, v107, v116
	v_fmac_f32_e32 v67, 0x3e9e377a, v68
	v_fmac_f32_e32 v57, 0x3e9e377a, v68
	v_add_f32_e32 v68, v58, v107
	v_fma_f32 v58, -0.5, v73, v58
	v_mov_b32_e32 v74, v58
	v_fmac_f32_e32 v74, 0x3f737871, v71
	v_sub_f32_e32 v73, v75, v107
	v_sub_f32_e32 v104, v114, v116
	v_fmac_f32_e32 v58, 0xbf737871, v71
	v_add_f32_e32 v71, v113, v115
	v_fmac_f32_e32 v74, 0xbf167918, v69
	v_add_f32_e32 v73, v73, v104
	v_fmac_f32_e32 v58, 0x3f167918, v69
	v_fma_f32 v71, -0.5, v71, v59
	v_add_f32_e32 v61, v61, v105
	v_fmac_f32_e32 v74, 0x3e9e377a, v73
	v_fmac_f32_e32 v58, 0x3e9e377a, v73
	v_sub_f32_e32 v104, v107, v116
	v_mov_b32_e32 v73, v71
	v_add_f32_e32 v61, v61, v106
	v_add_f32_e32 v68, v68, v75
	v_fmac_f32_e32 v73, 0x3f737871, v104
	v_sub_f32_e32 v105, v75, v114
	v_sub_f32_e32 v75, v108, v113
	;; [unrolled: 1-line block ×3, first 2 shown]
	v_fmac_f32_e32 v71, 0xbf737871, v104
	v_fmac_f32_e32 v73, 0x3f167918, v105
	v_add_f32_e32 v75, v75, v106
	v_fmac_f32_e32 v71, 0xbf167918, v105
	v_fmac_f32_e32 v73, 0x3e9e377a, v75
	;; [unrolled: 1-line block ×3, first 2 shown]
	v_add_f32_e32 v75, v108, v117
	v_add_f32_e32 v69, v59, v108
	v_fmac_f32_e32 v59, -0.5, v75
	v_mov_b32_e32 v75, v59
	v_add_f32_e32 v69, v69, v113
	v_fmac_f32_e32 v75, 0xbf737871, v105
	v_sub_f32_e32 v106, v113, v108
	v_sub_f32_e32 v107, v115, v117
	v_fmac_f32_e32 v59, 0x3f737871, v105
	v_add_f32_e32 v68, v68, v114
	v_add_f32_e32 v69, v69, v115
	v_fmac_f32_e32 v75, 0x3f167918, v104
	v_add_f32_e32 v106, v106, v107
	v_fmac_f32_e32 v59, 0xbf167918, v104
	v_add_f32_e32 v68, v68, v116
	v_add_f32_e32 v69, v69, v117
	v_fmac_f32_e32 v75, 0x3e9e377a, v106
	v_fmac_f32_e32 v59, 0x3e9e377a, v106
	s_barrier
	ds_write2_b64 v111, v[60:61], v[64:65] offset1:2
	ds_write2_b64 v111, v[66:67], v[56:57] offset0:4 offset1:6
	ds_write_b64 v111, v[62:63] offset:64
	ds_write2_b64 v112, v[68:69], v[72:73] offset1:2
	ds_write2_b64 v112, v[74:75], v[58:59] offset0:4 offset1:6
	ds_write_b64 v112, v[70:71] offset:64
	s_and_saveexec_b64 s[4:5], s[2:3]
	s_cbranch_execz .LBB0_21
; %bb.20:
	v_mul_f32_e32 v56, v3, v97
	v_fma_f32 v57, v2, v98, -v56
	v_mul_f32_e32 v56, v1, v18
	v_fma_f32 v58, v0, v19, -v56
	v_mul_f32_e32 v56, v7, v16
	v_mul_f32_e32 v61, v5, v55
	v_fma_f32 v59, v6, v17, -v56
	v_mul_f32_e32 v56, v5, v54
	v_fmac_f32_e32 v61, v4, v54
	v_mul_f32_e32 v7, v7, v17
	v_fma_f32 v60, v4, v55, -v56
	v_add_f32_e32 v4, v61, v52
	v_fmac_f32_e32 v7, v6, v16
	v_mul_f32_e32 v6, v1, v19
	v_add_f32_e32 v4, v7, v4
	v_fmac_f32_e32 v6, v0, v18
	v_add_f32_e32 v0, v6, v4
	v_mul_f32_e32 v4, v3, v98
	v_fmac_f32_e32 v4, v2, v97
	v_add_f32_e32 v55, v4, v0
	v_sub_f32_e32 v0, v59, v60
	v_sub_f32_e32 v1, v58, v57
	v_add_f32_e32 v0, v0, v1
	v_add_f32_e32 v1, v60, v57
	v_fma_f32 v1, -0.5, v1, v53
	v_sub_f32_e32 v2, v7, v6
	v_mov_b32_e32 v3, v1
	v_fmac_f32_e32 v3, 0x3f737871, v2
	v_sub_f32_e32 v16, v61, v4
	v_fmac_f32_e32 v1, 0xbf737871, v2
	v_fmac_f32_e32 v3, 0xbf167918, v16
	;; [unrolled: 1-line block ×5, first 2 shown]
	v_sub_f32_e32 v0, v60, v59
	v_sub_f32_e32 v5, v57, v58
	v_add_f32_e32 v0, v0, v5
	v_add_f32_e32 v5, v59, v58
	;; [unrolled: 1-line block ×3, first 2 shown]
	v_fmac_f32_e32 v53, -0.5, v5
	v_mov_b32_e32 v5, v53
	v_fmac_f32_e32 v5, 0xbf737871, v16
	v_fmac_f32_e32 v53, 0x3f737871, v16
	;; [unrolled: 1-line block ×6, first 2 shown]
	v_sub_f32_e32 v0, v7, v61
	v_sub_f32_e32 v2, v6, v4
	v_add_f32_e32 v16, v0, v2
	v_add_f32_e32 v0, v61, v4
	v_fma_f32 v0, -0.5, v0, v52
	v_sub_f32_e32 v18, v59, v58
	v_mov_b32_e32 v2, v0
	v_sub_f32_e32 v17, v60, v57
	v_fmac_f32_e32 v2, 0xbf737871, v18
	v_fmac_f32_e32 v0, 0x3f737871, v18
	;; [unrolled: 1-line block ×6, first 2 shown]
	v_sub_f32_e32 v16, v61, v7
	v_sub_f32_e32 v4, v4, v6
	v_add_f32_e32 v16, v16, v4
	v_add_f32_e32 v4, v7, v6
	v_fmac_f32_e32 v52, -0.5, v4
	v_add_f32_e32 v56, v59, v56
	v_mov_b32_e32 v4, v52
	v_fmac_f32_e32 v52, 0xbf737871, v17
	v_mul_u32_u24_e32 v6, 10, v109
	v_add_f32_e32 v56, v58, v56
	v_fmac_f32_e32 v4, 0x3f737871, v17
	v_fmac_f32_e32 v52, 0xbf167918, v18
	v_or_b32_e32 v6, v6, v103
	v_add_f32_e32 v56, v57, v56
	v_fmac_f32_e32 v4, 0x3f167918, v18
	v_fmac_f32_e32 v52, 0x3e9e377a, v16
	v_lshlrev_b32_e32 v6, 3, v6
	v_fmac_f32_e32 v4, 0x3e9e377a, v16
	ds_write2_b64 v6, v[55:56], v[52:53] offset1:2
	ds_write2_b64 v6, v[0:1], v[2:3] offset0:4 offset1:6
	ds_write_b64 v6, v[4:5] offset:64
.LBB0_21:
	s_or_b64 exec, exec, s[4:5]
	s_waitcnt lgkmcnt(0)
	s_barrier
	ds_read2_b64 v[16:19], v99 offset1:110
	v_add_u32_e32 v2, 0x400, v99
	ds_read2_b64 v[52:55], v2 offset0:92 offset1:202
	v_add_u32_e32 v4, 0xc00, v99
	ds_read2_b64 v[56:59], v4 offset0:56 offset1:166
	;; [unrolled: 2-line block ×3, first 2 shown]
	v_add_u32_e32 v5, 0x1800, v99
	s_waitcnt lgkmcnt(3)
	v_mul_f32_e32 v68, v25, v19
	ds_read2_b64 v[64:67], v5 offset0:112 offset1:222
	ds_read_b64 v[6:7], v99 offset:8800
	v_fmac_f32_e32 v68, v24, v18
	v_mul_f32_e32 v18, v25, v18
	s_waitcnt lgkmcnt(4)
	v_mul_f32_e32 v25, v21, v55
	v_mul_f32_e32 v21, v21, v54
	v_fmac_f32_e32 v25, v20, v54
	v_fma_f32 v20, v20, v55, -v21
	s_waitcnt lgkmcnt(3)
	v_mul_f32_e32 v21, v23, v57
	v_mul_f32_e32 v23, v23, v56
	v_fmac_f32_e32 v21, v22, v56
	v_fma_f32 v22, v22, v57, -v23
	v_mul_f32_e32 v23, v13, v59
	v_mul_f32_e32 v13, v13, v58
	v_fmac_f32_e32 v23, v12, v58
	v_fma_f32 v12, v12, v59, -v13
	s_waitcnt lgkmcnt(2)
	v_mul_f32_e32 v13, v15, v61
	v_mul_f32_e32 v15, v15, v60
	v_fmac_f32_e32 v13, v14, v60
	v_fma_f32 v14, v14, v61, -v15
	v_mul_f32_e32 v15, v9, v63
	v_mul_f32_e32 v9, v9, v62
	v_fma_f32 v18, v24, v19, -v18
	v_mul_f32_e32 v19, v27, v53
	v_mul_f32_e32 v24, v27, v52
	v_fmac_f32_e32 v15, v8, v62
	v_fma_f32 v8, v8, v63, -v9
	s_waitcnt lgkmcnt(1)
	v_mul_f32_e32 v9, v11, v65
	v_mul_f32_e32 v11, v11, v64
	s_waitcnt lgkmcnt(0)
	v_mul_f32_e32 v27, v31, v7
	v_fmac_f32_e32 v19, v26, v52
	v_fma_f32 v24, v26, v53, -v24
	v_fmac_f32_e32 v9, v10, v64
	v_fma_f32 v10, v10, v65, -v11
	v_mul_f32_e32 v11, v29, v67
	v_mul_f32_e32 v26, v29, v66
	v_fmac_f32_e32 v27, v30, v6
	v_mul_f32_e32 v6, v31, v6
	v_fmac_f32_e32 v11, v28, v66
	v_fma_f32 v26, v28, v67, -v26
	v_fma_f32 v28, v30, v7, -v6
	v_add_f32_e32 v7, v17, v18
	v_add_f32_e32 v7, v7, v24
	;; [unrolled: 1-line block ×17, first 2 shown]
	v_sub_f32_e32 v18, v18, v28
	v_mad_u64_u32 v[0:1], s[2:3], s10, v86, 0
	v_add_f32_e32 v6, v6, v9
	v_add_f32_e32 v7, v7, v28
	v_mul_f32_e32 v28, 0xbf0a6770, v18
	v_mul_f32_e32 v54, 0xbf68dda4, v18
	;; [unrolled: 1-line block ×5, first 2 shown]
	v_add_f32_e32 v6, v6, v11
	v_add_f32_e32 v29, v68, v27
	s_mov_b32 s4, 0x3f575c64
	v_mov_b32_e32 v31, v28
	v_mul_f32_e32 v52, 0x3f575c64, v30
	s_mov_b32 s2, 0x3ed4b147
	v_mov_b32_e32 v55, v54
	v_mul_f32_e32 v56, 0x3ed4b147, v30
	;; [unrolled: 3-line block ×5, first 2 shown]
	v_add_f32_e32 v6, v6, v27
	v_sub_f32_e32 v27, v68, v27
	v_fmac_f32_e32 v31, 0x3f575c64, v29
	v_mov_b32_e32 v53, v52
	v_fma_f32 v28, v29, s4, -v28
	v_fmac_f32_e32 v55, 0x3ed4b147, v29
	v_mov_b32_e32 v57, v56
	v_fma_f32 v54, v29, s2, -v54
	;; [unrolled: 3-line block ×5, first 2 shown]
	v_add_f32_e32 v31, v16, v31
	v_fmac_f32_e32 v53, 0x3f0a6770, v27
	v_add_f32_e32 v28, v16, v28
	v_fmac_f32_e32 v52, 0xbf0a6770, v27
	;; [unrolled: 2-line block ×10, first 2 shown]
	v_add_f32_e32 v18, v19, v11
	v_add_f32_e32 v27, v24, v26
	v_sub_f32_e32 v11, v19, v11
	v_sub_f32_e32 v19, v24, v26
	v_mul_f32_e32 v24, 0xbf68dda4, v19
	v_mul_f32_e32 v29, 0x3ed4b147, v27
	v_add_f32_e32 v53, v17, v53
	v_add_f32_e32 v52, v17, v52
	;; [unrolled: 1-line block ×10, first 2 shown]
	v_mov_b32_e32 v26, v24
	v_mov_b32_e32 v30, v29
	v_fma_f32 v24, v18, s2, -v24
	v_fmac_f32_e32 v29, 0xbf68dda4, v11
	v_fmac_f32_e32 v26, 0x3ed4b147, v18
	v_add_f32_e32 v24, v24, v28
	v_add_f32_e32 v28, v29, v52
	v_mul_f32_e32 v29, 0xbf4178ce, v19
	v_add_f32_e32 v26, v26, v31
	v_mov_b32_e32 v31, v29
	v_fma_f32 v29, v18, s5, -v29
	v_fmac_f32_e32 v31, 0xbf27a4f4, v18
	v_add_f32_e32 v29, v29, v54
	v_mul_f32_e32 v54, 0x3e903f40, v19
	v_add_f32_e32 v31, v31, v55
	v_mov_b32_e32 v55, v54
	v_fma_f32 v54, v18, s6, -v54
	v_fmac_f32_e32 v30, 0x3f68dda4, v11
	v_mul_f32_e32 v52, 0xbf27a4f4, v27
	v_fmac_f32_e32 v55, 0xbf75a155, v18
	v_add_f32_e32 v54, v54, v58
	v_mul_f32_e32 v58, 0x3f7d64f0, v19
	v_add_f32_e32 v30, v30, v53
	v_mov_b32_e32 v53, v52
	v_fmac_f32_e32 v52, 0xbf4178ce, v11
	v_add_f32_e32 v55, v55, v59
	v_mov_b32_e32 v59, v58
	v_fma_f32 v58, v18, s3, -v58
	v_mul_f32_e32 v19, 0x3f0a6770, v19
	v_fmac_f32_e32 v53, 0x3f4178ce, v11
	v_add_f32_e32 v52, v52, v56
	v_mul_f32_e32 v56, 0xbf75a155, v27
	v_add_f32_e32 v58, v58, v62
	v_mov_b32_e32 v62, v19
	v_add_f32_e32 v53, v53, v57
	v_mov_b32_e32 v57, v56
	v_fmac_f32_e32 v56, 0x3e903f40, v11
	v_fmac_f32_e32 v59, 0xbe11bafb, v18
	;; [unrolled: 1-line block ×3, first 2 shown]
	v_fma_f32 v18, v18, s4, -v19
	v_fmac_f32_e32 v57, 0xbe903f40, v11
	v_add_f32_e32 v56, v56, v60
	v_mul_f32_e32 v60, 0xbe11bafb, v27
	v_mul_f32_e32 v27, 0x3f575c64, v27
	v_add_f32_e32 v16, v18, v16
	v_add_f32_e32 v18, v20, v10
	v_sub_f32_e32 v10, v20, v10
	v_add_f32_e32 v57, v57, v61
	v_add_f32_e32 v59, v59, v63
	v_mov_b32_e32 v61, v60
	v_mov_b32_e32 v63, v27
	v_fmac_f32_e32 v27, 0x3f0a6770, v11
	v_mul_f32_e32 v19, 0xbf7d64f0, v10
	v_fmac_f32_e32 v61, 0xbf7d64f0, v11
	v_fmac_f32_e32 v60, 0x3f7d64f0, v11
	;; [unrolled: 1-line block ×3, first 2 shown]
	v_add_f32_e32 v11, v27, v17
	v_add_f32_e32 v17, v25, v9
	v_mov_b32_e32 v20, v19
	v_sub_f32_e32 v9, v25, v9
	v_fmac_f32_e32 v20, 0xbe11bafb, v17
	v_mul_f32_e32 v25, 0xbe11bafb, v18
	v_add_f32_e32 v20, v20, v26
	v_mov_b32_e32 v26, v25
	v_fma_f32 v19, v17, s3, -v19
	v_fmac_f32_e32 v25, 0xbf7d64f0, v9
	v_add_f32_e32 v19, v19, v24
	v_add_f32_e32 v24, v25, v28
	v_mul_f32_e32 v25, 0x3e903f40, v10
	v_mov_b32_e32 v27, v25
	v_fma_f32 v25, v17, s6, -v25
	v_fmac_f32_e32 v27, 0xbf75a155, v17
	v_add_f32_e32 v25, v25, v29
	v_mul_f32_e32 v29, 0x3f68dda4, v10
	v_fmac_f32_e32 v26, 0x3f7d64f0, v9
	v_add_f32_e32 v27, v27, v31
	v_mul_f32_e32 v28, 0xbf75a155, v18
	v_mov_b32_e32 v31, v29
	v_fma_f32 v29, v17, s2, -v29
	v_add_f32_e32 v26, v26, v30
	v_mov_b32_e32 v30, v28
	v_fmac_f32_e32 v28, 0x3e903f40, v9
	v_fmac_f32_e32 v31, 0x3ed4b147, v17
	v_add_f32_e32 v29, v29, v54
	v_mul_f32_e32 v54, 0xbf0a6770, v10
	v_fmac_f32_e32 v30, 0xbe903f40, v9
	v_add_f32_e32 v28, v28, v52
	v_add_f32_e32 v31, v31, v55
	v_mul_f32_e32 v52, 0x3ed4b147, v18
	v_mov_b32_e32 v55, v54
	v_fma_f32 v54, v17, s4, -v54
	v_mul_f32_e32 v10, 0xbf4178ce, v10
	v_add_f32_e32 v30, v30, v53
	v_mov_b32_e32 v53, v52
	v_fmac_f32_e32 v52, 0x3f68dda4, v9
	v_add_f32_e32 v54, v54, v58
	v_mov_b32_e32 v58, v10
	v_fma_f32 v10, v17, s5, -v10
	v_fmac_f32_e32 v53, 0xbf68dda4, v9
	v_add_f32_e32 v52, v52, v56
	v_fmac_f32_e32 v55, 0x3f575c64, v17
	v_mul_f32_e32 v56, 0x3f575c64, v18
	v_mul_f32_e32 v18, 0xbf27a4f4, v18
	v_add_f32_e32 v10, v10, v16
	v_add_f32_e32 v16, v22, v8
	v_sub_f32_e32 v8, v22, v8
	v_add_f32_e32 v53, v53, v57
	v_add_f32_e32 v55, v55, v59
	v_mov_b32_e32 v57, v56
	v_fmac_f32_e32 v58, 0xbf27a4f4, v17
	v_mov_b32_e32 v59, v18
	v_fmac_f32_e32 v18, 0xbf4178ce, v9
	v_mul_f32_e32 v17, 0xbf4178ce, v8
	v_fmac_f32_e32 v57, 0x3f0a6770, v9
	v_fmac_f32_e32 v56, 0xbf0a6770, v9
	;; [unrolled: 1-line block ×3, first 2 shown]
	v_add_f32_e32 v9, v18, v11
	v_add_f32_e32 v11, v21, v15
	v_mov_b32_e32 v18, v17
	v_fmac_f32_e32 v18, 0xbf27a4f4, v11
	v_sub_f32_e32 v15, v21, v15
	v_add_f32_e32 v18, v18, v20
	v_mul_f32_e32 v20, 0xbf27a4f4, v16
	v_mov_b32_e32 v21, v20
	v_fma_f32 v17, v11, s5, -v17
	v_fmac_f32_e32 v20, 0xbf4178ce, v15
	v_add_f32_e32 v17, v17, v19
	v_add_f32_e32 v19, v20, v24
	v_mul_f32_e32 v20, 0x3f7d64f0, v8
	v_fmac_f32_e32 v21, 0x3f4178ce, v15
	v_mov_b32_e32 v22, v20
	v_mul_f32_e32 v24, 0xbe11bafb, v16
	v_fma_f32 v20, v11, s3, -v20
	v_add_f32_e32 v21, v21, v26
	v_fmac_f32_e32 v22, 0xbe11bafb, v11
	v_mov_b32_e32 v26, v24
	v_add_f32_e32 v20, v20, v25
	v_fmac_f32_e32 v24, 0x3f7d64f0, v15
	v_mul_f32_e32 v25, 0xbf0a6770, v8
	v_add_f32_e32 v22, v22, v27
	v_fmac_f32_e32 v26, 0xbf7d64f0, v15
	v_add_f32_e32 v24, v24, v28
	v_mov_b32_e32 v27, v25
	v_mul_f32_e32 v28, 0x3f575c64, v16
	v_fma_f32 v25, v11, s4, -v25
	v_add_f32_e32 v26, v26, v30
	v_fmac_f32_e32 v27, 0x3f575c64, v11
	v_mov_b32_e32 v30, v28
	v_add_f32_e32 v25, v25, v29
	v_fmac_f32_e32 v28, 0xbf0a6770, v15
	v_mul_f32_e32 v29, 0xbe903f40, v8
	v_add_f32_e32 v61, v61, v65
	v_add_f32_e32 v60, v60, v64
	;; [unrolled: 1-line block ×3, first 2 shown]
	v_fmac_f32_e32 v30, 0x3f0a6770, v15
	v_add_f32_e32 v28, v28, v52
	v_mov_b32_e32 v31, v29
	v_mul_f32_e32 v52, 0xbf75a155, v16
	v_fma_f32 v29, v11, s6, -v29
	v_mul_f32_e32 v8, 0x3f68dda4, v8
	v_add_f32_e32 v62, v62, v66
	v_add_f32_e32 v57, v57, v61
	;; [unrolled: 1-line block ×4, first 2 shown]
	v_fmac_f32_e32 v31, 0xbf75a155, v11
	v_mov_b32_e32 v53, v52
	v_add_f32_e32 v29, v29, v54
	v_fmac_f32_e32 v52, 0xbe903f40, v15
	v_mov_b32_e32 v54, v8
	v_mul_f32_e32 v16, 0x3ed4b147, v16
	v_fma_f32 v8, v11, s2, -v8
	v_sub_f32_e32 v61, v12, v14
	v_add_f32_e32 v63, v63, v67
	v_add_f32_e32 v58, v58, v62
	;; [unrolled: 1-line block ×4, first 2 shown]
	v_fmac_f32_e32 v54, 0x3ed4b147, v11
	v_mov_b32_e32 v55, v16
	v_add_f32_e32 v56, v8, v10
	v_mul_f32_e32 v10, 0xbe903f40, v61
	v_add_f32_e32 v59, v59, v63
	v_add_f32_e32 v54, v54, v58
	v_fmac_f32_e32 v55, 0xbf68dda4, v15
	v_add_f32_e32 v58, v23, v13
	v_mov_b32_e32 v8, v10
	v_add_f32_e32 v55, v55, v59
	v_add_f32_e32 v59, v12, v14
	v_fmac_f32_e32 v8, 0xbf75a155, v58
	v_fmac_f32_e32 v53, 0x3e903f40, v15
	;; [unrolled: 1-line block ×3, first 2 shown]
	v_add_f32_e32 v8, v8, v18
	v_mul_f32_e32 v14, 0x3f0a6770, v61
	v_mul_f32_e32 v15, 0x3f575c64, v59
	;; [unrolled: 1-line block ×3, first 2 shown]
	v_add_f32_e32 v53, v53, v57
	v_add_f32_e32 v57, v16, v9
	v_sub_f32_e32 v60, v23, v13
	v_mul_f32_e32 v11, 0xbf75a155, v59
	v_mov_b32_e32 v12, v14
	v_mov_b32_e32 v13, v15
	;; [unrolled: 1-line block ×4, first 2 shown]
	v_fmac_f32_e32 v11, 0xbe903f40, v60
	v_fmac_f32_e32 v12, 0x3f575c64, v58
	;; [unrolled: 1-line block ×5, first 2 shown]
	v_fma_f32 v10, v58, s6, -v10
	v_add_f32_e32 v11, v11, v19
	v_add_f32_e32 v12, v12, v22
	;; [unrolled: 1-line block ×3, first 2 shown]
	v_fma_f32 v14, v58, s4, -v14
	v_fmac_f32_e32 v15, 0x3f0a6770, v60
	v_add_f32_e32 v16, v16, v27
	v_mul_f32_e32 v19, 0xbf27a4f4, v59
	v_fma_f32 v18, v58, s5, -v18
	v_mul_f32_e32 v22, 0x3f68dda4, v61
	v_mul_f32_e32 v23, 0x3ed4b147, v59
	;; [unrolled: 1-line block ×4, first 2 shown]
	v_add_f32_e32 v9, v9, v21
	v_add_f32_e32 v10, v10, v17
	;; [unrolled: 1-line block ×4, first 2 shown]
	v_mov_b32_e32 v17, v19
	v_add_f32_e32 v18, v18, v25
	v_mov_b32_e32 v20, v22
	v_mov_b32_e32 v21, v23
	;; [unrolled: 1-line block ×4, first 2 shown]
	v_fmac_f32_e32 v17, 0x3f4178ce, v60
	v_fmac_f32_e32 v19, 0xbf4178ce, v60
	;; [unrolled: 1-line block ×4, first 2 shown]
	v_fma_f32 v22, v58, s2, -v22
	v_fmac_f32_e32 v23, 0x3f68dda4, v60
	v_fmac_f32_e32 v24, 0xbe11bafb, v58
	;; [unrolled: 1-line block ×3, first 2 shown]
	v_fma_f32 v26, v58, s3, -v26
	v_fmac_f32_e32 v27, 0xbf7d64f0, v60
	v_add_f32_e32 v17, v17, v30
	v_add_f32_e32 v19, v19, v28
	;; [unrolled: 1-line block ×10, first 2 shown]
	s_barrier
	ds_write2_b64 v110, v[6:7], v[8:9] offset1:10
	ds_write2_b64 v110, v[12:13], v[16:17] offset0:20 offset1:30
	ds_write2_b64 v110, v[20:21], v[24:25] offset0:40 offset1:50
	;; [unrolled: 1-line block ×4, first 2 shown]
	ds_write_b64 v110, v[10:11] offset:800
	s_waitcnt lgkmcnt(0)
	s_barrier
	ds_read2_b64 v[6:9], v99 offset1:110
	ds_read2_b64 v[10:13], v2 offset0:92 offset1:202
	ds_read2_b64 v[14:17], v4 offset0:56 offset1:166
	;; [unrolled: 1-line block ×4, first 2 shown]
	ds_read_b64 v[26:27], v99 offset:8800
	s_waitcnt lgkmcnt(5)
	v_mul_f32_e32 v28, v45, v9
	v_fmac_f32_e32 v28, v44, v8
	v_mul_f32_e32 v8, v45, v8
	v_fma_f32 v29, v44, v9, -v8
	s_waitcnt lgkmcnt(4)
	v_mul_f32_e32 v30, v47, v11
	v_mul_f32_e32 v8, v47, v10
	v_fmac_f32_e32 v30, v46, v10
	v_fma_f32 v10, v46, v11, -v8
	v_mul_f32_e32 v11, v41, v13
	v_mul_f32_e32 v8, v41, v12
	v_fmac_f32_e32 v11, v40, v12
	v_fma_f32 v12, v40, v13, -v8
	s_waitcnt lgkmcnt(3)
	v_mul_f32_e32 v13, v43, v15
	v_mul_f32_e32 v8, v43, v14
	v_fmac_f32_e32 v13, v42, v14
	v_fma_f32 v14, v42, v15, -v8
	v_mul_f32_e32 v15, v37, v17
	v_mul_f32_e32 v8, v37, v16
	v_fmac_f32_e32 v15, v36, v16
	;; [unrolled: 9-line block ×4, first 2 shown]
	v_fma_f32 v24, v48, v25, -v8
	s_waitcnt lgkmcnt(0)
	v_mul_f32_e32 v25, v51, v27
	v_mul_f32_e32 v8, v51, v26
	v_add_f32_e32 v9, v7, v29
	v_fmac_f32_e32 v25, v50, v26
	v_fma_f32 v26, v50, v27, -v8
	v_add_f32_e32 v8, v6, v28
	v_add_f32_e32 v9, v9, v10
	;; [unrolled: 1-line block ×19, first 2 shown]
	v_sub_f32_e32 v26, v29, v26
	v_add_f32_e32 v8, v8, v25
	v_add_f32_e32 v27, v28, v25
	v_sub_f32_e32 v25, v28, v25
	v_mul_f32_e32 v28, 0xbf0a6770, v26
	v_mul_f32_e32 v34, 0xbf68dda4, v26
	;; [unrolled: 1-line block ×5, first 2 shown]
	v_mov_b32_e32 v29, v28
	v_mov_b32_e32 v35, v34
	;; [unrolled: 1-line block ×5, first 2 shown]
	v_fmac_f32_e32 v29, 0x3f575c64, v27
	v_fma_f32 v28, v27, s4, -v28
	v_fmac_f32_e32 v35, 0x3ed4b147, v27
	v_fma_f32 v34, v27, s2, -v34
	;; [unrolled: 2-line block ×5, first 2 shown]
	v_add_f32_e32 v29, v6, v29
	v_mul_f32_e32 v32, 0x3f575c64, v31
	v_add_f32_e32 v28, v6, v28
	v_add_f32_e32 v35, v6, v35
	v_mul_f32_e32 v36, 0x3ed4b147, v31
	v_add_f32_e32 v34, v6, v34
	;; [unrolled: 3-line block ×5, first 2 shown]
	v_add_f32_e32 v26, v10, v24
	v_sub_f32_e32 v10, v10, v24
	v_mov_b32_e32 v33, v32
	v_mov_b32_e32 v37, v36
	;; [unrolled: 1-line block ×5, first 2 shown]
	v_mul_f32_e32 v24, 0xbf68dda4, v10
	v_fmac_f32_e32 v33, 0x3f0a6770, v25
	v_fmac_f32_e32 v32, 0xbf0a6770, v25
	;; [unrolled: 1-line block ×10, first 2 shown]
	v_add_f32_e32 v25, v30, v23
	v_mov_b32_e32 v27, v24
	v_fmac_f32_e32 v27, 0x3ed4b147, v25
	v_sub_f32_e32 v23, v30, v23
	v_add_f32_e32 v27, v27, v29
	v_mul_f32_e32 v29, 0x3ed4b147, v26
	v_add_f32_e32 v32, v7, v32
	v_mov_b32_e32 v30, v29
	v_fma_f32 v24, v25, s2, -v24
	v_fmac_f32_e32 v29, 0xbf68dda4, v23
	v_add_f32_e32 v24, v24, v28
	v_add_f32_e32 v28, v29, v32
	v_mul_f32_e32 v29, 0xbf4178ce, v10
	v_add_f32_e32 v33, v7, v33
	v_add_f32_e32 v37, v7, v37
	;; [unrolled: 1-line block ×9, first 2 shown]
	v_mov_b32_e32 v31, v29
	v_fma_f32 v29, v25, s5, -v29
	v_fmac_f32_e32 v30, 0x3f68dda4, v23
	v_fmac_f32_e32 v31, 0xbf27a4f4, v25
	v_mul_f32_e32 v32, 0xbf27a4f4, v26
	v_add_f32_e32 v29, v29, v34
	v_mul_f32_e32 v34, 0x3e903f40, v10
	v_add_f32_e32 v30, v30, v33
	v_add_f32_e32 v31, v31, v35
	v_mov_b32_e32 v33, v32
	v_fmac_f32_e32 v32, 0xbf4178ce, v23
	v_mov_b32_e32 v35, v34
	v_fma_f32 v34, v25, s6, -v34
	v_fmac_f32_e32 v33, 0x3f4178ce, v23
	v_add_f32_e32 v32, v32, v36
	v_fmac_f32_e32 v35, 0xbf75a155, v25
	v_mul_f32_e32 v36, 0xbf75a155, v26
	v_add_f32_e32 v34, v34, v38
	v_mul_f32_e32 v38, 0x3f7d64f0, v10
	v_add_f32_e32 v33, v33, v37
	v_add_f32_e32 v35, v35, v39
	v_mov_b32_e32 v37, v36
	v_fmac_f32_e32 v36, 0x3e903f40, v23
	v_mov_b32_e32 v39, v38
	v_fmac_f32_e32 v37, 0xbe903f40, v23
	v_add_f32_e32 v36, v36, v40
	v_fmac_f32_e32 v39, 0xbe11bafb, v25
	v_mul_f32_e32 v40, 0xbe11bafb, v26
	v_mul_f32_e32 v26, 0x3f575c64, v26
	v_add_f32_e32 v37, v37, v41
	v_add_f32_e32 v39, v39, v43
	v_mov_b32_e32 v41, v40
	v_fma_f32 v38, v25, s3, -v38
	v_mul_f32_e32 v10, 0x3f0a6770, v10
	v_mov_b32_e32 v43, v26
	v_fmac_f32_e32 v41, 0xbf7d64f0, v23
	v_add_f32_e32 v38, v38, v42
	v_fmac_f32_e32 v40, 0x3f7d64f0, v23
	v_mov_b32_e32 v42, v10
	v_fmac_f32_e32 v43, 0xbf0a6770, v23
	v_fma_f32 v10, v25, s4, -v10
	v_fmac_f32_e32 v26, 0x3f0a6770, v23
	v_add_f32_e32 v23, v12, v22
	v_sub_f32_e32 v12, v12, v22
	v_fmac_f32_e32 v42, 0x3f575c64, v25
	v_add_f32_e32 v6, v10, v6
	v_add_f32_e32 v10, v11, v21
	v_sub_f32_e32 v11, v11, v21
	v_mul_f32_e32 v21, 0xbf7d64f0, v12
	v_mul_f32_e32 v25, 0xbe11bafb, v23
	v_add_f32_e32 v7, v26, v7
	v_mov_b32_e32 v22, v21
	v_mov_b32_e32 v26, v25
	v_fma_f32 v21, v10, s3, -v21
	v_fmac_f32_e32 v25, 0xbf7d64f0, v11
	v_fmac_f32_e32 v22, 0xbe11bafb, v10
	v_add_f32_e32 v21, v21, v24
	v_add_f32_e32 v24, v25, v28
	v_mul_f32_e32 v25, 0x3e903f40, v12
	v_add_f32_e32 v22, v22, v27
	v_mov_b32_e32 v27, v25
	v_fma_f32 v25, v10, s6, -v25
	v_fmac_f32_e32 v27, 0xbf75a155, v10
	v_add_f32_e32 v25, v25, v29
	v_mul_f32_e32 v29, 0x3f68dda4, v12
	v_fmac_f32_e32 v26, 0x3f7d64f0, v11
	v_add_f32_e32 v27, v27, v31
	v_mul_f32_e32 v28, 0xbf75a155, v23
	v_mov_b32_e32 v31, v29
	v_fma_f32 v29, v10, s2, -v29
	v_add_f32_e32 v26, v26, v30
	v_mov_b32_e32 v30, v28
	v_fmac_f32_e32 v28, 0x3e903f40, v11
	v_fmac_f32_e32 v31, 0x3ed4b147, v10
	v_add_f32_e32 v29, v29, v34
	v_mul_f32_e32 v34, 0xbf0a6770, v12
	v_fmac_f32_e32 v30, 0xbe903f40, v11
	v_add_f32_e32 v28, v28, v32
	v_add_f32_e32 v31, v31, v35
	v_mul_f32_e32 v32, 0x3ed4b147, v23
	v_mov_b32_e32 v35, v34
	v_fma_f32 v34, v10, s4, -v34
	v_mul_f32_e32 v12, 0xbf4178ce, v12
	v_add_f32_e32 v30, v30, v33
	v_mov_b32_e32 v33, v32
	v_fmac_f32_e32 v32, 0x3f68dda4, v11
	v_add_f32_e32 v34, v34, v38
	v_mov_b32_e32 v38, v12
	v_fmac_f32_e32 v33, 0xbf68dda4, v11
	v_add_f32_e32 v32, v32, v36
	v_fmac_f32_e32 v35, 0x3f575c64, v10
	v_mul_f32_e32 v36, 0x3f575c64, v23
	v_fmac_f32_e32 v38, 0xbf27a4f4, v10
	v_mul_f32_e32 v23, 0xbf27a4f4, v23
	v_fma_f32 v10, v10, s5, -v12
	v_add_f32_e32 v33, v33, v37
	v_add_f32_e32 v35, v35, v39
	v_mov_b32_e32 v37, v36
	v_mov_b32_e32 v39, v23
	v_add_f32_e32 v6, v10, v6
	v_add_f32_e32 v10, v13, v19
	v_sub_f32_e32 v12, v13, v19
	v_sub_f32_e32 v13, v14, v20
	v_fmac_f32_e32 v37, 0x3f0a6770, v11
	v_fmac_f32_e32 v36, 0xbf0a6770, v11
	;; [unrolled: 1-line block ×4, first 2 shown]
	v_add_f32_e32 v11, v14, v20
	v_mul_f32_e32 v14, 0xbf4178ce, v13
	v_mov_b32_e32 v19, v14
	v_fma_f32 v14, v10, s5, -v14
	v_fmac_f32_e32 v19, 0xbf27a4f4, v10
	v_mul_f32_e32 v20, 0xbf27a4f4, v11
	v_add_f32_e32 v14, v14, v21
	v_mul_f32_e32 v21, 0x3f7d64f0, v13
	v_add_f32_e32 v7, v23, v7
	v_add_f32_e32 v19, v19, v22
	v_mov_b32_e32 v22, v20
	v_fmac_f32_e32 v20, 0xbf4178ce, v12
	v_mov_b32_e32 v23, v21
	v_fma_f32 v21, v10, s3, -v21
	v_fmac_f32_e32 v22, 0x3f4178ce, v12
	v_add_f32_e32 v20, v20, v24
	v_fmac_f32_e32 v23, 0xbe11bafb, v10
	v_mul_f32_e32 v24, 0xbe11bafb, v11
	v_add_f32_e32 v21, v21, v25
	v_mul_f32_e32 v25, 0xbf0a6770, v13
	v_add_f32_e32 v22, v22, v26
	v_add_f32_e32 v23, v23, v27
	v_mov_b32_e32 v26, v24
	v_fmac_f32_e32 v24, 0x3f7d64f0, v12
	v_mov_b32_e32 v27, v25
	v_fma_f32 v25, v10, s4, -v25
	v_fmac_f32_e32 v26, 0xbf7d64f0, v12
	v_add_f32_e32 v24, v24, v28
	v_fmac_f32_e32 v27, 0x3f575c64, v10
	v_mul_f32_e32 v28, 0x3f575c64, v11
	v_add_f32_e32 v25, v25, v29
	v_mul_f32_e32 v29, 0xbe903f40, v13
	v_add_f32_e32 v26, v26, v30
	v_add_f32_e32 v27, v27, v31
	v_mov_b32_e32 v30, v28
	v_fmac_f32_e32 v28, 0xbf0a6770, v12
	v_mov_b32_e32 v31, v29
	v_fma_f32 v29, v10, s6, -v29
	v_mul_f32_e32 v13, 0x3f68dda4, v13
	v_add_f32_e32 v41, v41, v45
	v_add_f32_e32 v40, v40, v44
	;; [unrolled: 1-line block ×3, first 2 shown]
	v_fmac_f32_e32 v30, 0x3f0a6770, v12
	v_add_f32_e32 v28, v28, v32
	v_fmac_f32_e32 v31, 0xbf75a155, v10
	v_mul_f32_e32 v32, 0xbf75a155, v11
	v_add_f32_e32 v29, v29, v34
	v_mov_b32_e32 v34, v13
	v_mul_f32_e32 v11, 0x3ed4b147, v11
	v_add_f32_e32 v43, v43, v47
	v_add_f32_e32 v37, v37, v41
	v_add_f32_e32 v36, v36, v40
	v_add_f32_e32 v38, v38, v42
	v_add_f32_e32 v30, v30, v33
	v_add_f32_e32 v31, v31, v35
	v_mov_b32_e32 v33, v32
	v_fmac_f32_e32 v32, 0xbe903f40, v12
	v_fmac_f32_e32 v34, 0x3ed4b147, v10
	v_mov_b32_e32 v35, v11
	v_fma_f32 v10, v10, s2, -v13
	v_sub_f32_e32 v41, v16, v18
	v_add_f32_e32 v39, v39, v43
	v_add_f32_e32 v32, v32, v36
	;; [unrolled: 1-line block ×3, first 2 shown]
	v_fmac_f32_e32 v35, 0xbf68dda4, v12
	v_add_f32_e32 v36, v10, v6
	v_add_f32_e32 v38, v15, v17
	v_mul_f32_e32 v10, 0xbe903f40, v41
	v_fmac_f32_e32 v33, 0x3e903f40, v12
	v_add_f32_e32 v35, v35, v39
	v_fmac_f32_e32 v11, 0x3f68dda4, v12
	v_add_f32_e32 v39, v16, v18
	v_mov_b32_e32 v6, v10
	v_fma_f32 v10, v38, s6, -v10
	v_add_f32_e32 v33, v33, v37
	v_add_f32_e32 v37, v11, v7
	v_sub_f32_e32 v40, v15, v17
	v_mul_f32_e32 v11, 0xbf75a155, v39
	v_add_f32_e32 v10, v10, v14
	v_mul_f32_e32 v14, 0x3f0a6770, v41
	v_mul_f32_e32 v15, 0x3f575c64, v39
	;; [unrolled: 1-line block ×3, first 2 shown]
	v_mov_b32_e32 v7, v11
	v_mov_b32_e32 v12, v14
	;; [unrolled: 1-line block ×4, first 2 shown]
	v_fmac_f32_e32 v6, 0xbf75a155, v38
	v_fmac_f32_e32 v7, 0x3e903f40, v40
	;; [unrolled: 1-line block ×5, first 2 shown]
	v_add_f32_e32 v6, v6, v19
	v_add_f32_e32 v7, v7, v22
	v_fmac_f32_e32 v11, 0xbe903f40, v40
	v_add_f32_e32 v12, v12, v23
	v_add_f32_e32 v13, v13, v26
	v_fma_f32 v14, v38, s4, -v14
	v_fmac_f32_e32 v15, 0x3f0a6770, v40
	v_add_f32_e32 v16, v16, v27
	v_mul_f32_e32 v19, 0xbf27a4f4, v39
	v_fma_f32 v18, v38, s5, -v18
	v_mul_f32_e32 v22, 0x3f68dda4, v41
	v_mul_f32_e32 v23, 0x3ed4b147, v39
	;; [unrolled: 1-line block ×4, first 2 shown]
	v_add_f32_e32 v11, v11, v20
	v_add_f32_e32 v14, v14, v21
	;; [unrolled: 1-line block ×3, first 2 shown]
	v_mov_b32_e32 v17, v19
	v_add_f32_e32 v18, v18, v25
	v_mov_b32_e32 v20, v22
	v_mov_b32_e32 v21, v23
	;; [unrolled: 1-line block ×4, first 2 shown]
	v_fmac_f32_e32 v17, 0x3f4178ce, v40
	v_fmac_f32_e32 v19, 0xbf4178ce, v40
	;; [unrolled: 1-line block ×4, first 2 shown]
	v_fma_f32 v22, v38, s2, -v22
	v_fmac_f32_e32 v23, 0x3f68dda4, v40
	v_fmac_f32_e32 v24, 0xbe11bafb, v38
	;; [unrolled: 1-line block ×3, first 2 shown]
	v_fma_f32 v26, v38, s3, -v26
	v_fmac_f32_e32 v27, 0xbf7d64f0, v40
	v_add_f32_e32 v17, v17, v30
	v_add_f32_e32 v19, v19, v28
	;; [unrolled: 1-line block ×10, first 2 shown]
	ds_write2_b64 v99, v[8:9], v[6:7] offset1:110
	ds_write2_b64 v2, v[12:13], v[16:17] offset0:92 offset1:202
	ds_write2_b64 v4, v[20:21], v[24:25] offset0:56 offset1:166
	;; [unrolled: 1-line block ×4, first 2 shown]
	ds_write_b64 v99, v[10:11] offset:8800
	s_waitcnt lgkmcnt(0)
	s_barrier
	ds_read2_b64 v[5:8], v99 offset1:110
	v_mad_u64_u32 v[9:10], s[2:3], s11, v86, v[1:2]
	s_mov_b32 s2, 0xdfd760e6
	s_mov_b32 s3, 0x3f4b14bb
	s_waitcnt lgkmcnt(0)
	v_mul_f32_e32 v1, v96, v6
	v_fmac_f32_e32 v1, v95, v5
	v_cvt_f64_f32_e32 v[10:11], v1
	v_mul_f32_e32 v1, v96, v5
	v_mad_u64_u32 v[13:14], s[4:5], s8, v102, 0
	v_mul_f64 v[10:11], v[10:11], s[2:3]
	v_fma_f32 v1, v95, v6, -v1
	v_cvt_f64_f32_e32 v[5:6], v1
	v_mov_b32_e32 v1, v9
	v_mov_b32_e32 v9, v14
	v_lshlrev_b64 v[0:1], 3, v[0:1]
	v_mul_f64 v[5:6], v[5:6], s[2:3]
	v_add_co_u32_e32 v17, vcc, s12, v0
	v_mad_u64_u32 v[14:15], s[4:5], s9, v102, v[9:10]
	v_cvt_f32_f64_e32 v15, v[10:11]
	ds_read2_b64 v[9:12], v4 offset0:56 offset1:221
	s_mul_i32 s4, s9, 0x25d
	v_cvt_f32_f64_e32 v16, v[5:6]
	v_mov_b32_e32 v6, s13
	v_addc_co_u32_e32 v6, vcc, v6, v1, vcc
	s_waitcnt lgkmcnt(0)
	v_mul_f32_e32 v4, v94, v12
	v_fmac_f32_e32 v4, v93, v11
	v_mul_f32_e32 v11, v94, v11
	v_fma_f32 v11, v93, v12, -v11
	v_cvt_f64_f32_e32 v[4:5], v4
	v_cvt_f64_f32_e32 v[11:12], v11
	s_mul_hi_u32 s5, s8, 0x25d
	s_add_i32 s5, s5, s4
	v_mul_f64 v[0:1], v[4:5], s[2:3]
	v_mul_f64 v[4:5], v[11:12], s[2:3]
	v_lshlrev_b64 v[11:12], 3, v[13:14]
	s_mul_i32 s4, s8, 0x25d
	v_add_co_u32_e32 v11, vcc, v17, v11
	v_addc_co_u32_e32 v12, vcc, v6, v12, vcc
	v_cvt_f32_f64_e32 v0, v[0:1]
	v_cvt_f32_f64_e32 v1, v[4:5]
	v_mul_f32_e32 v4, v90, v8
	v_mul_f32_e32 v6, v90, v7
	v_fmac_f32_e32 v4, v89, v7
	v_fma_f32 v6, v89, v8, -v6
	v_cvt_f64_f32_e32 v[4:5], v4
	v_cvt_f64_f32_e32 v[6:7], v6
	s_lshl_b64 s[4:5], s[4:5], 3
	global_store_dwordx2 v[11:12], v[15:16], off
	v_mul_f64 v[4:5], v[4:5], s[2:3]
	v_mul_f64 v[6:7], v[6:7], s[2:3]
	v_mov_b32_e32 v17, s5
	v_add_co_u32_e32 v11, vcc, s4, v11
	v_addc_co_u32_e32 v12, vcc, v12, v17, vcc
	global_store_dwordx2 v[11:12], v[0:1], off
	v_cvt_f32_f64_e32 v13, v[4:5]
	v_cvt_f32_f64_e32 v14, v[6:7]
	ds_read2_b64 v[3:6], v3 offset0:75 offset1:185
	s_mul_hi_u32 s7, s8, 0xfffffe11
	s_mul_i32 s6, s9, 0xfffffe11
	s_sub_i32 s7, s7, s8
	s_add_i32 s7, s7, s6
	s_waitcnt lgkmcnt(0)
	v_mul_f32_e32 v0, v92, v4
	v_fmac_f32_e32 v0, v91, v3
	v_mul_f32_e32 v3, v92, v3
	v_fma_f32 v3, v91, v4, -v3
	v_cvt_f64_f32_e32 v[0:1], v0
	v_cvt_f64_f32_e32 v[3:4], v3
	s_mul_i32 s6, s8, 0xfffffe11
	s_lshl_b64 s[6:7], s[6:7], 3
	v_mul_f64 v[7:8], v[0:1], s[2:3]
	v_mul_f64 v[15:16], v[3:4], s[2:3]
	ds_read2_b64 v[0:3], v2 offset0:92 offset1:202
	v_mov_b32_e32 v18, s7
	v_add_co_u32_e32 v11, vcc, s6, v11
	v_addc_co_u32_e32 v12, vcc, v12, v18, vcc
	s_waitcnt lgkmcnt(0)
	v_mul_f32_e32 v4, v88, v1
	v_fmac_f32_e32 v4, v87, v0
	global_store_dwordx2 v[11:12], v[13:14], off
	v_cvt_f64_f32_e32 v[13:14], v4
	v_mul_f32_e32 v0, v88, v0
	v_fma_f32 v0, v87, v1, -v0
	v_cvt_f64_f32_e32 v[0:1], v0
	v_mul_f32_e32 v4, v85, v6
	v_fmac_f32_e32 v4, v84, v5
	v_cvt_f32_f64_e32 v7, v[7:8]
	v_cvt_f32_f64_e32 v8, v[15:16]
	v_mul_f64 v[13:14], v[13:14], s[2:3]
	v_cvt_f64_f32_e32 v[15:16], v4
	v_mul_f32_e32 v4, v85, v5
	v_fma_f32 v4, v84, v6, -v4
	v_mul_f64 v[0:1], v[0:1], s[2:3]
	v_cvt_f64_f32_e32 v[4:5], v4
	v_add_co_u32_e32 v11, vcc, s4, v11
	v_cvt_f32_f64_e32 v6, v[13:14]
	v_mul_f64 v[4:5], v[4:5], s[2:3]
	v_mul_f64 v[13:14], v[15:16], s[2:3]
	v_addc_co_u32_e32 v12, vcc, v12, v17, vcc
	global_store_dwordx2 v[11:12], v[7:8], off
	v_cvt_f32_f64_e32 v7, v[0:1]
	v_add_co_u32_e32 v11, vcc, s6, v11
	v_mul_f32_e32 v0, v83, v3
	v_addc_co_u32_e32 v12, vcc, v12, v18, vcc
	v_fmac_f32_e32 v0, v82, v2
	global_store_dwordx2 v[11:12], v[6:7], off
	v_cvt_f32_f64_e32 v7, v[4:5]
	v_cvt_f64_f32_e32 v[4:5], v0
	v_mul_f32_e32 v0, v83, v2
	v_fma_f32 v0, v82, v3, -v0
	v_cvt_f32_f64_e32 v6, v[13:14]
	v_cvt_f64_f32_e32 v[13:14], v0
	v_add_u32_e32 v0, 0x1c00, v99
	ds_read2_b64 v[0:3], v0 offset0:39 offset1:149
	v_mul_f64 v[4:5], v[4:5], s[2:3]
	v_mul_f64 v[13:14], v[13:14], s[2:3]
	v_add_co_u32_e32 v11, vcc, s4, v11
	s_waitcnt lgkmcnt(0)
	v_mul_f32_e32 v8, v81, v1
	v_fmac_f32_e32 v8, v80, v0
	v_mul_f32_e32 v0, v81, v0
	v_fma_f32 v0, v80, v1, -v0
	v_cvt_f64_f32_e32 v[15:16], v8
	v_cvt_f64_f32_e32 v[0:1], v0
	v_addc_co_u32_e32 v12, vcc, v12, v17, vcc
	global_store_dwordx2 v[11:12], v[6:7], off
	v_mul_f64 v[6:7], v[15:16], s[2:3]
	v_mul_f64 v[0:1], v[0:1], s[2:3]
	v_cvt_f32_f64_e32 v4, v[4:5]
	v_cvt_f32_f64_e32 v5, v[13:14]
	v_add_co_u32_e32 v11, vcc, s6, v11
	v_addc_co_u32_e32 v12, vcc, v12, v18, vcc
	global_store_dwordx2 v[11:12], v[4:5], off
	v_cvt_f32_f64_e32 v4, v[6:7]
	v_cvt_f32_f64_e32 v5, v[0:1]
	v_mul_f32_e32 v0, v77, v10
	v_mul_f32_e32 v6, v77, v9
	v_fmac_f32_e32 v0, v76, v9
	v_fma_f32 v6, v76, v10, -v6
	v_mul_f32_e32 v10, v79, v3
	v_cvt_f64_f32_e32 v[0:1], v0
	v_cvt_f64_f32_e32 v[6:7], v6
	v_fmac_f32_e32 v10, v78, v2
	v_mul_f32_e32 v2, v79, v2
	v_fma_f32 v2, v78, v3, -v2
	v_add_co_u32_e32 v8, vcc, s4, v11
	v_cvt_f64_f32_e32 v[10:11], v10
	v_cvt_f64_f32_e32 v[2:3], v2
	v_mul_f64 v[0:1], v[0:1], s[2:3]
	v_mul_f64 v[6:7], v[6:7], s[2:3]
	v_addc_co_u32_e32 v9, vcc, v12, v17, vcc
	global_store_dwordx2 v[8:9], v[4:5], off
	v_mul_f64 v[4:5], v[10:11], s[2:3]
	v_mul_f64 v[2:3], v[2:3], s[2:3]
	v_cvt_f32_f64_e32 v0, v[0:1]
	v_cvt_f32_f64_e32 v1, v[6:7]
	v_add_co_u32_e32 v6, vcc, s6, v8
	v_addc_co_u32_e32 v7, vcc, v9, v18, vcc
	v_cvt_f32_f64_e32 v4, v[4:5]
	v_cvt_f32_f64_e32 v5, v[2:3]
	global_store_dwordx2 v[6:7], v[0:1], off
	v_add_co_u32_e32 v0, vcc, s4, v6
	v_addc_co_u32_e32 v1, vcc, v7, v17, vcc
	global_store_dwordx2 v[0:1], v[4:5], off
	s_and_b64 exec, exec, s[0:1]
	s_cbranch_execz .LBB0_23
; %bb.22:
	v_add_co_u32_e32 v2, vcc, 0x1000, v100
	v_addc_co_u32_e32 v3, vcc, 0, v101, vcc
	s_movk_i32 s0, 0x2000
	v_add_co_u32_e32 v4, vcc, s0, v100
	global_load_dwordx2 v[2:3], v[2:3], off offset:304
	v_addc_co_u32_e32 v5, vcc, 0, v101, vcc
	global_load_dwordx2 v[4:5], v[4:5], off offset:1048
	ds_read_b64 v[6:7], v99 offset:4400
	ds_read_b64 v[8:9], v99 offset:9240
	v_mov_b32_e32 v10, s7
	v_add_co_u32_e32 v0, vcc, s6, v0
	v_addc_co_u32_e32 v1, vcc, v1, v10, vcc
	v_mov_b32_e32 v11, s5
	s_waitcnt vmcnt(1) lgkmcnt(1)
	v_mul_f32_e32 v12, v7, v3
	v_mul_f32_e32 v3, v6, v3
	v_fmac_f32_e32 v12, v6, v2
	s_waitcnt vmcnt(0) lgkmcnt(0)
	v_mul_f32_e32 v13, v9, v5
	v_mul_f32_e32 v5, v8, v5
	v_fma_f32 v6, v2, v7, -v3
	v_fmac_f32_e32 v13, v8, v4
	v_fma_f32 v8, v4, v9, -v5
	v_cvt_f64_f32_e32 v[2:3], v12
	v_cvt_f64_f32_e32 v[4:5], v6
	;; [unrolled: 1-line block ×4, first 2 shown]
	v_mul_f64 v[2:3], v[2:3], s[2:3]
	v_mul_f64 v[4:5], v[4:5], s[2:3]
	;; [unrolled: 1-line block ×4, first 2 shown]
	v_cvt_f32_f64_e32 v2, v[2:3]
	v_cvt_f32_f64_e32 v3, v[4:5]
	v_cvt_f32_f64_e32 v4, v[6:7]
	v_cvt_f32_f64_e32 v5, v[8:9]
	v_add_co_u32_e32 v6, vcc, s4, v0
	v_addc_co_u32_e32 v7, vcc, v1, v11, vcc
	global_store_dwordx2 v[0:1], v[2:3], off
	global_store_dwordx2 v[6:7], v[4:5], off
.LBB0_23:
	s_endpgm
	.section	.rodata,"a",@progbits
	.p2align	6, 0x0
	.amdhsa_kernel bluestein_single_fwd_len1210_dim1_sp_op_CI_CI
		.amdhsa_group_segment_fixed_size 9680
		.amdhsa_private_segment_fixed_size 0
		.amdhsa_kernarg_size 104
		.amdhsa_user_sgpr_count 6
		.amdhsa_user_sgpr_private_segment_buffer 1
		.amdhsa_user_sgpr_dispatch_ptr 0
		.amdhsa_user_sgpr_queue_ptr 0
		.amdhsa_user_sgpr_kernarg_segment_ptr 1
		.amdhsa_user_sgpr_dispatch_id 0
		.amdhsa_user_sgpr_flat_scratch_init 0
		.amdhsa_user_sgpr_private_segment_size 0
		.amdhsa_uses_dynamic_stack 0
		.amdhsa_system_sgpr_private_segment_wavefront_offset 0
		.amdhsa_system_sgpr_workgroup_id_x 1
		.amdhsa_system_sgpr_workgroup_id_y 0
		.amdhsa_system_sgpr_workgroup_id_z 0
		.amdhsa_system_sgpr_workgroup_info 0
		.amdhsa_system_vgpr_workitem_id 0
		.amdhsa_next_free_vgpr 138
		.amdhsa_next_free_sgpr 20
		.amdhsa_reserve_vcc 1
		.amdhsa_reserve_flat_scratch 0
		.amdhsa_float_round_mode_32 0
		.amdhsa_float_round_mode_16_64 0
		.amdhsa_float_denorm_mode_32 3
		.amdhsa_float_denorm_mode_16_64 3
		.amdhsa_dx10_clamp 1
		.amdhsa_ieee_mode 1
		.amdhsa_fp16_overflow 0
		.amdhsa_exception_fp_ieee_invalid_op 0
		.amdhsa_exception_fp_denorm_src 0
		.amdhsa_exception_fp_ieee_div_zero 0
		.amdhsa_exception_fp_ieee_overflow 0
		.amdhsa_exception_fp_ieee_underflow 0
		.amdhsa_exception_fp_ieee_inexact 0
		.amdhsa_exception_int_div_zero 0
	.end_amdhsa_kernel
	.text
.Lfunc_end0:
	.size	bluestein_single_fwd_len1210_dim1_sp_op_CI_CI, .Lfunc_end0-bluestein_single_fwd_len1210_dim1_sp_op_CI_CI
                                        ; -- End function
	.section	.AMDGPU.csdata,"",@progbits
; Kernel info:
; codeLenInByte = 15812
; NumSgprs: 24
; NumVgprs: 138
; ScratchSize: 0
; MemoryBound: 0
; FloatMode: 240
; IeeeMode: 1
; LDSByteSize: 9680 bytes/workgroup (compile time only)
; SGPRBlocks: 2
; VGPRBlocks: 34
; NumSGPRsForWavesPerEU: 24
; NumVGPRsForWavesPerEU: 138
; Occupancy: 1
; WaveLimiterHint : 1
; COMPUTE_PGM_RSRC2:SCRATCH_EN: 0
; COMPUTE_PGM_RSRC2:USER_SGPR: 6
; COMPUTE_PGM_RSRC2:TRAP_HANDLER: 0
; COMPUTE_PGM_RSRC2:TGID_X_EN: 1
; COMPUTE_PGM_RSRC2:TGID_Y_EN: 0
; COMPUTE_PGM_RSRC2:TGID_Z_EN: 0
; COMPUTE_PGM_RSRC2:TIDIG_COMP_CNT: 0
	.type	__hip_cuid_50be2079ada09a1d,@object ; @__hip_cuid_50be2079ada09a1d
	.section	.bss,"aw",@nobits
	.globl	__hip_cuid_50be2079ada09a1d
__hip_cuid_50be2079ada09a1d:
	.byte	0                               ; 0x0
	.size	__hip_cuid_50be2079ada09a1d, 1

	.ident	"AMD clang version 19.0.0git (https://github.com/RadeonOpenCompute/llvm-project roc-6.4.0 25133 c7fe45cf4b819c5991fe208aaa96edf142730f1d)"
	.section	".note.GNU-stack","",@progbits
	.addrsig
	.addrsig_sym __hip_cuid_50be2079ada09a1d
	.amdgpu_metadata
---
amdhsa.kernels:
  - .args:
      - .actual_access:  read_only
        .address_space:  global
        .offset:         0
        .size:           8
        .value_kind:     global_buffer
      - .actual_access:  read_only
        .address_space:  global
        .offset:         8
        .size:           8
        .value_kind:     global_buffer
      - .actual_access:  read_only
        .address_space:  global
        .offset:         16
        .size:           8
        .value_kind:     global_buffer
      - .actual_access:  read_only
        .address_space:  global
        .offset:         24
        .size:           8
        .value_kind:     global_buffer
      - .actual_access:  read_only
        .address_space:  global
        .offset:         32
        .size:           8
        .value_kind:     global_buffer
      - .offset:         40
        .size:           8
        .value_kind:     by_value
      - .address_space:  global
        .offset:         48
        .size:           8
        .value_kind:     global_buffer
      - .address_space:  global
        .offset:         56
        .size:           8
        .value_kind:     global_buffer
      - .address_space:  global
        .offset:         64
        .size:           8
        .value_kind:     global_buffer
      - .address_space:  global
        .offset:         72
        .size:           8
        .value_kind:     global_buffer
      - .offset:         80
        .size:           4
        .value_kind:     by_value
      - .address_space:  global
        .offset:         88
        .size:           8
        .value_kind:     global_buffer
      - .address_space:  global
        .offset:         96
        .size:           8
        .value_kind:     global_buffer
    .group_segment_fixed_size: 9680
    .kernarg_segment_align: 8
    .kernarg_segment_size: 104
    .language:       OpenCL C
    .language_version:
      - 2
      - 0
    .max_flat_workgroup_size: 110
    .name:           bluestein_single_fwd_len1210_dim1_sp_op_CI_CI
    .private_segment_fixed_size: 0
    .sgpr_count:     24
    .sgpr_spill_count: 0
    .symbol:         bluestein_single_fwd_len1210_dim1_sp_op_CI_CI.kd
    .uniform_work_group_size: 1
    .uses_dynamic_stack: false
    .vgpr_count:     138
    .vgpr_spill_count: 0
    .wavefront_size: 64
amdhsa.target:   amdgcn-amd-amdhsa--gfx906
amdhsa.version:
  - 1
  - 2
...

	.end_amdgpu_metadata
